;; amdgpu-corpus repo=ROCm/rocFFT kind=compiled arch=gfx1201 opt=O3
	.text
	.amdgcn_target "amdgcn-amd-amdhsa--gfx1201"
	.amdhsa_code_object_version 6
	.protected	fft_rtc_fwd_len1512_factors_2_2_2_3_3_3_7_wgs_63_tpt_63_halfLds_sp_op_CI_CI_sbrr_dirReg ; -- Begin function fft_rtc_fwd_len1512_factors_2_2_2_3_3_3_7_wgs_63_tpt_63_halfLds_sp_op_CI_CI_sbrr_dirReg
	.globl	fft_rtc_fwd_len1512_factors_2_2_2_3_3_3_7_wgs_63_tpt_63_halfLds_sp_op_CI_CI_sbrr_dirReg
	.p2align	8
	.type	fft_rtc_fwd_len1512_factors_2_2_2_3_3_3_7_wgs_63_tpt_63_halfLds_sp_op_CI_CI_sbrr_dirReg,@function
fft_rtc_fwd_len1512_factors_2_2_2_3_3_3_7_wgs_63_tpt_63_halfLds_sp_op_CI_CI_sbrr_dirReg: ; @fft_rtc_fwd_len1512_factors_2_2_2_3_3_3_7_wgs_63_tpt_63_halfLds_sp_op_CI_CI_sbrr_dirReg
; %bb.0:
	s_clause 0x2
	s_load_b128 s[12:15], s[0:1], 0x18
	s_load_b128 s[4:7], s[0:1], 0x0
	;; [unrolled: 1-line block ×3, first 2 shown]
	v_mul_u32_u24_e32 v1, 0x411, v0
	v_mov_b32_e32 v9, 0
	v_mov_b32_e32 v10, 0
	s_wait_kmcnt 0x0
	s_load_b64 s[18:19], s[12:13], 0x0
	s_load_b64 s[16:17], s[14:15], 0x0
	v_lshrrev_b32_e32 v2, 16, v1
	v_mov_b32_e32 v1, 0
	v_cmp_lt_u64_e64 s2, s[6:7], 2
	s_delay_alu instid0(VALU_DEP_2) | instskip(NEXT) | instid1(VALU_DEP_2)
	v_dual_mov_b32 v4, v1 :: v_dual_add_nc_u32 v3, ttmp9, v2
	s_and_b32 vcc_lo, exec_lo, s2
	s_cbranch_vccnz .LBB0_8
; %bb.1:
	s_load_b64 s[2:3], s[0:1], 0x10
	v_mov_b32_e32 v9, 0
	v_mov_b32_e32 v10, 0
	s_add_nc_u64 s[20:21], s[14:15], 8
	s_add_nc_u64 s[22:23], s[12:13], 8
	s_mov_b64 s[24:25], 1
	s_delay_alu instid0(VALU_DEP_1)
	v_dual_mov_b32 v33, v10 :: v_dual_mov_b32 v32, v9
	s_wait_kmcnt 0x0
	s_add_nc_u64 s[26:27], s[2:3], 8
	s_mov_b32 s3, 0
.LBB0_2:                                ; =>This Inner Loop Header: Depth=1
	s_load_b64 s[28:29], s[26:27], 0x0
                                        ; implicit-def: $vgpr34_vgpr35
	s_mov_b32 s2, exec_lo
	s_wait_kmcnt 0x0
	v_or_b32_e32 v2, s29, v4
	s_delay_alu instid0(VALU_DEP_1)
	v_cmpx_ne_u64_e32 0, v[1:2]
	s_wait_alu 0xfffe
	s_xor_b32 s30, exec_lo, s2
	s_cbranch_execz .LBB0_4
; %bb.3:                                ;   in Loop: Header=BB0_2 Depth=1
	s_cvt_f32_u32 s2, s28
	s_cvt_f32_u32 s31, s29
	s_sub_nc_u64 s[36:37], 0, s[28:29]
	s_wait_alu 0xfffe
	s_delay_alu instid0(SALU_CYCLE_1) | instskip(SKIP_1) | instid1(SALU_CYCLE_2)
	s_fmamk_f32 s2, s31, 0x4f800000, s2
	s_wait_alu 0xfffe
	v_s_rcp_f32 s2, s2
	s_delay_alu instid0(TRANS32_DEP_1) | instskip(SKIP_1) | instid1(SALU_CYCLE_2)
	s_mul_f32 s2, s2, 0x5f7ffffc
	s_wait_alu 0xfffe
	s_mul_f32 s31, s2, 0x2f800000
	s_wait_alu 0xfffe
	s_delay_alu instid0(SALU_CYCLE_2) | instskip(SKIP_1) | instid1(SALU_CYCLE_2)
	s_trunc_f32 s31, s31
	s_wait_alu 0xfffe
	s_fmamk_f32 s2, s31, 0xcf800000, s2
	s_cvt_u32_f32 s35, s31
	s_wait_alu 0xfffe
	s_delay_alu instid0(SALU_CYCLE_1) | instskip(SKIP_1) | instid1(SALU_CYCLE_2)
	s_cvt_u32_f32 s34, s2
	s_wait_alu 0xfffe
	s_mul_u64 s[38:39], s[36:37], s[34:35]
	s_wait_alu 0xfffe
	s_mul_hi_u32 s41, s34, s39
	s_mul_i32 s40, s34, s39
	s_mul_hi_u32 s2, s34, s38
	s_mul_i32 s33, s35, s38
	s_wait_alu 0xfffe
	s_add_nc_u64 s[40:41], s[2:3], s[40:41]
	s_mul_hi_u32 s31, s35, s38
	s_mul_hi_u32 s42, s35, s39
	s_add_co_u32 s2, s40, s33
	s_wait_alu 0xfffe
	s_add_co_ci_u32 s2, s41, s31
	s_mul_i32 s38, s35, s39
	s_add_co_ci_u32 s39, s42, 0
	s_wait_alu 0xfffe
	s_add_nc_u64 s[38:39], s[2:3], s[38:39]
	s_wait_alu 0xfffe
	v_add_co_u32 v2, s2, s34, s38
	s_delay_alu instid0(VALU_DEP_1) | instskip(SKIP_1) | instid1(VALU_DEP_1)
	s_cmp_lg_u32 s2, 0
	s_add_co_ci_u32 s35, s35, s39
	v_readfirstlane_b32 s34, v2
	s_wait_alu 0xfffe
	s_delay_alu instid0(VALU_DEP_1)
	s_mul_u64 s[36:37], s[36:37], s[34:35]
	s_wait_alu 0xfffe
	s_mul_hi_u32 s39, s34, s37
	s_mul_i32 s38, s34, s37
	s_mul_hi_u32 s2, s34, s36
	s_mul_i32 s33, s35, s36
	s_wait_alu 0xfffe
	s_add_nc_u64 s[38:39], s[2:3], s[38:39]
	s_mul_hi_u32 s31, s35, s36
	s_mul_hi_u32 s34, s35, s37
	s_wait_alu 0xfffe
	s_add_co_u32 s2, s38, s33
	s_add_co_ci_u32 s2, s39, s31
	s_mul_i32 s36, s35, s37
	s_add_co_ci_u32 s37, s34, 0
	s_wait_alu 0xfffe
	s_add_nc_u64 s[36:37], s[2:3], s[36:37]
	s_wait_alu 0xfffe
	v_add_co_u32 v2, s2, v2, s36
	s_delay_alu instid0(VALU_DEP_1) | instskip(SKIP_1) | instid1(VALU_DEP_1)
	s_cmp_lg_u32 s2, 0
	s_add_co_ci_u32 s2, s35, s37
	v_mul_hi_u32 v13, v3, v2
	s_wait_alu 0xfffe
	v_mad_co_u64_u32 v[5:6], null, v3, s2, 0
	v_mad_co_u64_u32 v[7:8], null, v4, v2, 0
	;; [unrolled: 1-line block ×3, first 2 shown]
	s_delay_alu instid0(VALU_DEP_3) | instskip(SKIP_1) | instid1(VALU_DEP_4)
	v_add_co_u32 v2, vcc_lo, v13, v5
	s_wait_alu 0xfffd
	v_add_co_ci_u32_e32 v5, vcc_lo, 0, v6, vcc_lo
	s_delay_alu instid0(VALU_DEP_2) | instskip(SKIP_1) | instid1(VALU_DEP_2)
	v_add_co_u32 v2, vcc_lo, v2, v7
	s_wait_alu 0xfffd
	v_add_co_ci_u32_e32 v2, vcc_lo, v5, v8, vcc_lo
	s_wait_alu 0xfffd
	v_add_co_ci_u32_e32 v5, vcc_lo, 0, v12, vcc_lo
	s_delay_alu instid0(VALU_DEP_2) | instskip(SKIP_1) | instid1(VALU_DEP_2)
	v_add_co_u32 v2, vcc_lo, v2, v11
	s_wait_alu 0xfffd
	v_add_co_ci_u32_e32 v7, vcc_lo, 0, v5, vcc_lo
	s_delay_alu instid0(VALU_DEP_2) | instskip(SKIP_1) | instid1(VALU_DEP_3)
	v_mul_lo_u32 v8, s29, v2
	v_mad_co_u64_u32 v[5:6], null, s28, v2, 0
	v_mul_lo_u32 v11, s28, v7
	s_delay_alu instid0(VALU_DEP_2) | instskip(NEXT) | instid1(VALU_DEP_2)
	v_sub_co_u32 v5, vcc_lo, v3, v5
	v_add3_u32 v6, v6, v11, v8
	s_delay_alu instid0(VALU_DEP_1) | instskip(SKIP_1) | instid1(VALU_DEP_1)
	v_sub_nc_u32_e32 v8, v4, v6
	s_wait_alu 0xfffd
	v_subrev_co_ci_u32_e64 v8, s2, s29, v8, vcc_lo
	v_add_co_u32 v11, s2, v2, 2
	s_wait_alu 0xf1ff
	v_add_co_ci_u32_e64 v12, s2, 0, v7, s2
	v_sub_co_u32 v13, s2, v5, s28
	v_sub_co_ci_u32_e32 v6, vcc_lo, v4, v6, vcc_lo
	s_wait_alu 0xf1ff
	v_subrev_co_ci_u32_e64 v8, s2, 0, v8, s2
	s_delay_alu instid0(VALU_DEP_3) | instskip(NEXT) | instid1(VALU_DEP_3)
	v_cmp_le_u32_e32 vcc_lo, s28, v13
	v_cmp_eq_u32_e64 s2, s29, v6
	s_wait_alu 0xfffd
	v_cndmask_b32_e64 v13, 0, -1, vcc_lo
	v_cmp_le_u32_e32 vcc_lo, s29, v8
	s_wait_alu 0xfffd
	v_cndmask_b32_e64 v14, 0, -1, vcc_lo
	v_cmp_le_u32_e32 vcc_lo, s28, v5
	;; [unrolled: 3-line block ×3, first 2 shown]
	s_wait_alu 0xfffd
	v_cndmask_b32_e64 v15, 0, -1, vcc_lo
	v_cmp_eq_u32_e32 vcc_lo, s29, v8
	s_wait_alu 0xf1ff
	s_delay_alu instid0(VALU_DEP_2)
	v_cndmask_b32_e64 v5, v15, v5, s2
	s_wait_alu 0xfffd
	v_cndmask_b32_e32 v8, v14, v13, vcc_lo
	v_add_co_u32 v13, vcc_lo, v2, 1
	s_wait_alu 0xfffd
	v_add_co_ci_u32_e32 v14, vcc_lo, 0, v7, vcc_lo
	s_delay_alu instid0(VALU_DEP_3) | instskip(SKIP_1) | instid1(VALU_DEP_2)
	v_cmp_ne_u32_e32 vcc_lo, 0, v8
	s_wait_alu 0xfffd
	v_cndmask_b32_e32 v6, v14, v12, vcc_lo
	v_cndmask_b32_e32 v8, v13, v11, vcc_lo
	v_cmp_ne_u32_e32 vcc_lo, 0, v5
	s_wait_alu 0xfffd
	s_delay_alu instid0(VALU_DEP_2)
	v_dual_cndmask_b32 v35, v7, v6 :: v_dual_cndmask_b32 v34, v2, v8
.LBB0_4:                                ;   in Loop: Header=BB0_2 Depth=1
	s_wait_alu 0xfffe
	s_and_not1_saveexec_b32 s2, s30
	s_cbranch_execz .LBB0_6
; %bb.5:                                ;   in Loop: Header=BB0_2 Depth=1
	v_cvt_f32_u32_e32 v2, s28
	s_sub_co_i32 s30, 0, s28
	v_mov_b32_e32 v35, v1
	s_delay_alu instid0(VALU_DEP_2) | instskip(NEXT) | instid1(TRANS32_DEP_1)
	v_rcp_iflag_f32_e32 v2, v2
	v_mul_f32_e32 v2, 0x4f7ffffe, v2
	s_delay_alu instid0(VALU_DEP_1) | instskip(SKIP_1) | instid1(VALU_DEP_1)
	v_cvt_u32_f32_e32 v2, v2
	s_wait_alu 0xfffe
	v_mul_lo_u32 v5, s30, v2
	s_delay_alu instid0(VALU_DEP_1) | instskip(NEXT) | instid1(VALU_DEP_1)
	v_mul_hi_u32 v5, v2, v5
	v_add_nc_u32_e32 v2, v2, v5
	s_delay_alu instid0(VALU_DEP_1) | instskip(NEXT) | instid1(VALU_DEP_1)
	v_mul_hi_u32 v2, v3, v2
	v_mul_lo_u32 v5, v2, s28
	v_add_nc_u32_e32 v6, 1, v2
	s_delay_alu instid0(VALU_DEP_2) | instskip(NEXT) | instid1(VALU_DEP_1)
	v_sub_nc_u32_e32 v5, v3, v5
	v_subrev_nc_u32_e32 v7, s28, v5
	v_cmp_le_u32_e32 vcc_lo, s28, v5
	s_wait_alu 0xfffd
	s_delay_alu instid0(VALU_DEP_2) | instskip(NEXT) | instid1(VALU_DEP_1)
	v_dual_cndmask_b32 v5, v5, v7 :: v_dual_cndmask_b32 v2, v2, v6
	v_cmp_le_u32_e32 vcc_lo, s28, v5
	s_delay_alu instid0(VALU_DEP_2) | instskip(SKIP_1) | instid1(VALU_DEP_1)
	v_add_nc_u32_e32 v6, 1, v2
	s_wait_alu 0xfffd
	v_cndmask_b32_e32 v34, v2, v6, vcc_lo
.LBB0_6:                                ;   in Loop: Header=BB0_2 Depth=1
	s_wait_alu 0xfffe
	s_or_b32 exec_lo, exec_lo, s2
	v_mul_lo_u32 v2, v35, s28
	s_delay_alu instid0(VALU_DEP_2)
	v_mul_lo_u32 v7, v34, s29
	s_load_b64 s[30:31], s[22:23], 0x0
	v_mad_co_u64_u32 v[5:6], null, v34, s28, 0
	s_load_b64 s[28:29], s[20:21], 0x0
	s_add_nc_u64 s[24:25], s[24:25], 1
	s_add_nc_u64 s[20:21], s[20:21], 8
	s_wait_alu 0xfffe
	v_cmp_ge_u64_e64 s2, s[24:25], s[6:7]
	s_add_nc_u64 s[22:23], s[22:23], 8
	s_add_nc_u64 s[26:27], s[26:27], 8
	v_add3_u32 v2, v6, v7, v2
	v_sub_co_u32 v3, vcc_lo, v3, v5
	s_wait_alu 0xfffd
	s_delay_alu instid0(VALU_DEP_2) | instskip(SKIP_2) | instid1(VALU_DEP_1)
	v_sub_co_ci_u32_e32 v2, vcc_lo, v4, v2, vcc_lo
	s_and_b32 vcc_lo, exec_lo, s2
	s_wait_kmcnt 0x0
	v_mul_lo_u32 v4, s30, v2
	v_mul_lo_u32 v5, s31, v3
	v_mad_co_u64_u32 v[9:10], null, s30, v3, v[9:10]
	v_mul_lo_u32 v2, s28, v2
	v_mul_lo_u32 v6, s29, v3
	v_mad_co_u64_u32 v[32:33], null, s28, v3, v[32:33]
	s_delay_alu instid0(VALU_DEP_4) | instskip(NEXT) | instid1(VALU_DEP_2)
	v_add3_u32 v10, v5, v10, v4
	v_add3_u32 v33, v6, v33, v2
	s_wait_alu 0xfffe
	s_cbranch_vccnz .LBB0_9
; %bb.7:                                ;   in Loop: Header=BB0_2 Depth=1
	v_dual_mov_b32 v3, v34 :: v_dual_mov_b32 v4, v35
	s_branch .LBB0_2
.LBB0_8:
	v_dual_mov_b32 v33, v10 :: v_dual_mov_b32 v32, v9
	s_delay_alu instid0(VALU_DEP_2)
	v_dual_mov_b32 v35, v4 :: v_dual_mov_b32 v34, v3
.LBB0_9:
	s_load_b64 s[0:1], s[0:1], 0x28
	v_mul_hi_u32 v5, 0x4104105, v0
	s_lshl_b64 s[6:7], s[6:7], 3
                                        ; implicit-def: $sgpr2_sgpr3
                                        ; implicit-def: $vgpr56
                                        ; implicit-def: $vgpr58
                                        ; implicit-def: $vgpr59
                                        ; implicit-def: $vgpr57
                                        ; implicit-def: $vgpr71
                                        ; implicit-def: $vgpr66
                                        ; implicit-def: $vgpr67
                                        ; implicit-def: $vgpr68
                                        ; implicit-def: $vgpr80
                                        ; implicit-def: $vgpr78
                                        ; implicit-def: $vgpr31
                                        ; implicit-def: $vgpr79
	s_wait_kmcnt 0x0
	v_cmp_gt_u64_e32 vcc_lo, s[0:1], v[34:35]
	v_cmp_le_u64_e64 s0, s[0:1], v[34:35]
	s_delay_alu instid0(VALU_DEP_1)
	s_and_saveexec_b32 s1, s0
	s_wait_alu 0xfffe
	s_xor_b32 s0, exec_lo, s1
	s_cbranch_execz .LBB0_11
; %bb.10:
	v_mul_u32_u24_e32 v1, 63, v5
	s_mov_b64 s[2:3], 0
                                        ; implicit-def: $vgpr5
                                        ; implicit-def: $vgpr9_vgpr10
	s_delay_alu instid0(VALU_DEP_1) | instskip(NEXT) | instid1(VALU_DEP_1)
	v_sub_nc_u32_e32 v56, v0, v1
                                        ; implicit-def: $vgpr0
	v_add_nc_u32_e32 v58, 63, v56
	v_add_nc_u32_e32 v59, 0x7e, v56
	;; [unrolled: 1-line block ×11, first 2 shown]
.LBB0_11:
	s_wait_alu 0xfffe
	s_or_saveexec_b32 s1, s0
	v_dual_mov_b32 v1, s2 :: v_dual_mov_b32 v2, s3
	v_dual_mov_b32 v4, s3 :: v_dual_mov_b32 v3, s2
	;; [unrolled: 1-line block ×12, first 2 shown]
	s_add_nc_u64 s[2:3], s[14:15], s[6:7]
                                        ; implicit-def: $vgpr6
                                        ; implicit-def: $vgpr16
                                        ; implicit-def: $vgpr26
                                        ; implicit-def: $vgpr24
                                        ; implicit-def: $vgpr37
                                        ; implicit-def: $vgpr51
                                        ; implicit-def: $vgpr49
                                        ; implicit-def: $vgpr53
                                        ; implicit-def: $vgpr55
                                        ; implicit-def: $vgpr39
                                        ; implicit-def: $vgpr18
                                        ; implicit-def: $vgpr8
	s_wait_alu 0xfffe
	s_xor_b32 exec_lo, exec_lo, s1
	s_cbranch_execz .LBB0_13
; %bb.12:
	v_mul_u32_u24_e32 v1, 63, v5
	s_add_nc_u64 s[6:7], s[12:13], s[6:7]
	v_lshlrev_b64_e32 v[2:3], 3, v[9:10]
	s_load_b64 s[6:7], s[6:7], 0x0
	s_delay_alu instid0(VALU_DEP_2) | instskip(NEXT) | instid1(VALU_DEP_1)
	v_sub_nc_u32_e32 v56, v0, v1
	v_mad_co_u64_u32 v[0:1], null, s18, v56, 0
	v_add_nc_u32_e32 v16, 0x333, v56
	v_add_nc_u32_e32 v59, 0x7e, v56
	;; [unrolled: 1-line block ×6, first 2 shown]
	v_mad_co_u64_u32 v[10:11], null, s19, v56, v[1:2]
	v_mad_co_u64_u32 v[11:12], null, s18, v16, 0
	v_add_nc_u32_e32 v13, 0x2f4, v56
	s_wait_kmcnt 0x0
	v_mul_lo_u32 v15, s7, v34
	v_mul_lo_u32 v17, s6, v35
	v_mad_co_u64_u32 v[8:9], null, s6, v34, 0
	v_mad_co_u64_u32 v[4:5], null, s18, v13, 0
	v_add_nc_u32_e32 v58, 63, v56
	v_mad_co_u64_u32 v[36:37], null, s18, v68, 0
	v_add_nc_u32_e32 v66, 0x13b, v56
	v_add3_u32 v9, v9, v17, v15
	v_add_nc_u32_e32 v17, 0x372, v56
	v_mov_b32_e32 v1, v5
	v_mad_co_u64_u32 v[6:7], null, s18, v58, 0
	s_delay_alu instid0(VALU_DEP_4) | instskip(SKIP_1) | instid1(VALU_DEP_4)
	v_lshlrev_b64_e32 v[8:9], 3, v[8:9]
	v_mad_co_u64_u32 v[25:26], null, s18, v66, 0
	v_mad_co_u64_u32 v[13:14], null, s19, v13, v[1:2]
	v_mov_b32_e32 v1, v10
	v_mov_b32_e32 v5, v7
	v_add_co_u32 v8, s0, s8, v8
	v_mov_b32_e32 v10, v12
	s_wait_alu 0xf1ff
	v_add_co_ci_u32_e64 v9, s0, s9, v9, s0
	v_mad_co_u64_u32 v[14:15], null, s19, v58, v[5:6]
	v_add_co_u32 v55, s0, v8, v2
	s_wait_alu 0xf1ff
	s_delay_alu instid0(VALU_DEP_3) | instskip(SKIP_1) | instid1(VALU_DEP_4)
	v_add_co_ci_u32_e64 v65, s0, v9, v3, s0
	v_dual_mov_b32 v5, v13 :: v_dual_add_nc_u32 v80, 0x1f8, v56
	v_mov_b32_e32 v7, v14
	v_mad_co_u64_u32 v[13:14], null, s18, v17, 0
	s_delay_alu instid0(VALU_DEP_3) | instskip(SKIP_1) | instid1(VALU_DEP_4)
	v_lshlrev_b64_e32 v[4:5], 3, v[4:5]
	v_add_nc_u32_e32 v48, 0x4ec, v56
	v_lshlrev_b64_e32 v[2:3], 3, v[6:7]
	v_mad_co_u64_u32 v[6:7], null, s19, v16, v[10:11]
	v_mad_co_u64_u32 v[9:10], null, s18, v59, 0
	v_add_nc_u32_e32 v78, 0x237, v56
	v_add_nc_u32_e32 v50, 0x52b, v56
	v_add_nc_u32_e32 v60, 0x56a, v56
	v_dual_mov_b32 v12, v6 :: v_dual_add_nc_u32 v27, 0x3f0, v56
	v_lshlrev_b64_e32 v[0:1], 3, v[0:1]
	v_mov_b32_e32 v6, v10
	v_mad_co_u64_u32 v[46:47], null, s18, v78, 0
	s_delay_alu instid0(VALU_DEP_4)
	v_lshlrev_b64_e32 v[10:11], 3, v[11:12]
	v_mad_co_u64_u32 v[21:22], null, s18, v27, 0
	v_add_co_u32 v0, s0, v55, v0
	s_wait_alu 0xf1ff
	v_add_co_ci_u32_e64 v1, s0, v65, v1, s0
	v_add_co_u32 v4, s0, v55, v4
	s_wait_alu 0xf1ff
	v_add_co_ci_u32_e64 v5, s0, v65, v5, s0
	v_add_co_u32 v7, s0, v55, v2
	v_mov_b32_e32 v2, v14
	s_wait_alu 0xf1ff
	v_add_co_ci_u32_e64 v8, s0, v65, v3, s0
	s_delay_alu instid0(VALU_DEP_3) | instskip(NEXT) | instid1(VALU_DEP_3)
	v_mad_co_u64_u32 v[14:15], null, s19, v59, v[6:7]
	v_mad_co_u64_u32 v[2:3], null, s19, v17, v[2:3]
	v_add_co_u32 v15, s0, v55, v10
	s_wait_alu 0xf1ff
	v_add_co_ci_u32_e64 v16, s0, v65, v11, s0
	s_delay_alu instid0(VALU_DEP_4)
	v_mov_b32_e32 v10, v14
	v_mad_co_u64_u32 v[11:12], null, s18, v57, 0
	v_mov_b32_e32 v14, v2
	s_clause 0x3
	global_load_b64 v[1:2], v[0:1], off
	global_load_b64 v[5:6], v[4:5], off
	;; [unrolled: 1-line block ×4, first 2 shown]
	v_mad_co_u64_u32 v[17:18], null, s18, v19, 0
	v_lshlrev_b64_e32 v[9:10], 3, v[9:10]
	v_lshlrev_b64_e32 v[13:14], 3, v[13:14]
	v_dual_mov_b32 v0, v12 :: v_dual_add_nc_u32 v67, 0x17a, v56
	v_add_nc_u32_e32 v45, 0x4ad, v56
	v_dual_mov_b32 v12, v18 :: v_dual_add_nc_u32 v79, 0x2b5, v56
	v_add_co_u32 v9, s0, v55, v9
	s_wait_alu 0xf1ff
	v_add_co_ci_u32_e64 v10, s0, v65, v10, s0
	s_delay_alu instid0(VALU_DEP_3) | instskip(SKIP_3) | instid1(VALU_DEP_1)
	v_mad_co_u64_u32 v[18:19], null, s19, v19, v[12:13]
	v_mad_co_u64_u32 v[53:54], null, s18, v79, 0
	s_wait_loadcnt 0x3
	v_mad_co_u64_u32 v[15:16], null, s19, v57, v[0:1]
	v_dual_mov_b32 v12, v15 :: v_dual_add_nc_u32 v71, 0xfc, v56
	s_delay_alu instid0(VALU_DEP_1)
	v_mad_co_u64_u32 v[19:20], null, s18, v71, 0
	v_add_co_u32 v15, s0, v55, v13
	s_wait_alu 0xf1ff
	v_add_co_ci_u32_e64 v16, s0, v65, v14, s0
	v_lshlrev_b64_e32 v[11:12], 3, v[11:12]
	v_lshlrev_b64_e32 v[13:14], 3, v[17:18]
	v_mov_b32_e32 v0, v20
	s_delay_alu instid0(VALU_DEP_3) | instskip(NEXT) | instid1(VALU_DEP_2)
	v_add_co_u32 v11, s0, v55, v11
	v_mad_co_u64_u32 v[17:18], null, s19, v71, v[0:1]
	v_mov_b32_e32 v0, v22
	s_wait_alu 0xf1ff
	v_add_co_ci_u32_e64 v12, s0, v65, v12, s0
	v_add_co_u32 v23, s0, v55, v13
	s_delay_alu instid0(VALU_DEP_3)
	v_mad_co_u64_u32 v[27:28], null, s19, v27, v[0:1]
	v_mov_b32_e32 v20, v17
	v_mov_b32_e32 v0, v26
	s_wait_alu 0xf1ff
	v_add_co_ci_u32_e64 v24, s0, v65, v14, s0
	v_mad_co_u64_u32 v[28:29], null, s18, v30, 0
	s_clause 0x3
	global_load_b64 v[13:14], v[9:10], off
	global_load_b64 v[17:18], v[15:16], off
	;; [unrolled: 1-line block ×4, first 2 shown]
	v_lshlrev_b64_e32 v[9:10], 3, v[19:20]
	v_mov_b32_e32 v22, v27
	v_mad_co_u64_u32 v[19:20], null, s19, v66, v[0:1]
	v_mad_co_u64_u32 v[23:24], null, s18, v67, 0
	s_delay_alu instid0(VALU_DEP_3)
	v_lshlrev_b64_e32 v[20:21], 3, v[21:22]
	v_mov_b32_e32 v0, v29
	v_add_co_u32 v9, s0, v55, v9
	v_mov_b32_e32 v26, v19
	s_wait_alu 0xf1ff
	v_add_co_ci_u32_e64 v10, s0, v65, v10, s0
	v_add_co_u32 v19, s0, v55, v20
	v_mad_co_u64_u32 v[29:30], null, s19, v30, v[0:1]
	s_wait_alu 0xf1ff
	v_add_co_ci_u32_e64 v20, s0, v65, v21, s0
	v_lshlrev_b64_e32 v[21:22], 3, v[25:26]
	v_mov_b32_e32 v0, v24
	s_delay_alu instid0(VALU_DEP_2) | instskip(SKIP_1) | instid1(VALU_DEP_3)
	v_add_co_u32 v30, s0, v55, v21
	s_wait_alu 0xf1ff
	v_add_co_ci_u32_e64 v31, s0, v65, v22, s0
	v_lshlrev_b64_e32 v[21:22], 3, v[28:29]
	v_mad_co_u64_u32 v[24:25], null, s19, v67, v[0:1]
	v_add_nc_u32_e32 v25, 0x46e, v56
	s_delay_alu instid0(VALU_DEP_3) | instskip(SKIP_1) | instid1(VALU_DEP_3)
	v_add_co_u32 v38, s0, v55, v21
	v_mov_b32_e32 v21, v37
	v_mad_co_u64_u32 v[27:28], null, s18, v25, 0
	v_lshlrev_b64_e32 v[40:41], 3, v[23:24]
	s_wait_alu 0xf1ff
	v_add_co_ci_u32_e64 v39, s0, v65, v22, s0
	v_mad_co_u64_u32 v[42:43], null, s19, v68, v[21:22]
	v_mad_co_u64_u32 v[43:44], null, s18, v45, 0
	s_delay_alu instid0(VALU_DEP_2) | instskip(NEXT) | instid1(VALU_DEP_1)
	v_dual_mov_b32 v0, v28 :: v_dual_mov_b32 v37, v42
	v_mad_co_u64_u32 v[28:29], null, s19, v25, v[0:1]
	s_delay_alu instid0(VALU_DEP_3)
	v_mov_b32_e32 v0, v44
	s_clause 0x3
	global_load_b64 v[21:22], v[9:10], off
	global_load_b64 v[25:26], v[19:20], off
	;; [unrolled: 1-line block ×4, first 2 shown]
	v_add_co_u32 v9, s0, v55, v40
	s_wait_alu 0xf1ff
	v_add_co_ci_u32_e64 v10, s0, v65, v41, s0
	v_mad_co_u64_u32 v[29:30], null, s19, v45, v[0:1]
	v_mad_co_u64_u32 v[40:41], null, s18, v80, 0
	v_lshlrev_b64_e32 v[27:28], 3, v[27:28]
	v_lshlrev_b64_e32 v[30:31], 3, v[36:37]
	s_delay_alu instid0(VALU_DEP_4) | instskip(NEXT) | instid1(VALU_DEP_3)
	v_mov_b32_e32 v44, v29
	v_add_co_u32 v36, s0, v55, v27
	v_mov_b32_e32 v0, v41
	s_wait_alu 0xf1ff
	v_add_co_ci_u32_e64 v37, s0, v65, v28, s0
	v_lshlrev_b64_e32 v[27:28], 3, v[43:44]
	v_mad_co_u64_u32 v[42:43], null, s18, v48, 0
	v_mad_co_u64_u32 v[38:39], null, s19, v80, v[0:1]
	v_add_co_u32 v29, s0, v55, v30
	s_wait_alu 0xf1ff
	v_add_co_ci_u32_e64 v30, s0, v65, v31, s0
	v_add_co_u32 v44, s0, v55, v27
	v_mov_b32_e32 v0, v43
	s_wait_alu 0xf1ff
	v_add_co_ci_u32_e64 v45, s0, v65, v28, s0
	v_mov_b32_e32 v41, v38
	s_clause 0x3
	global_load_b64 v[27:28], v[9:10], off
	global_load_b64 v[38:39], v[36:37], off
	;; [unrolled: 1-line block ×4, first 2 shown]
	v_mad_co_u64_u32 v[44:45], null, s18, v50, 0
	v_mad_co_u64_u32 v[48:49], null, s19, v48, v[0:1]
	v_dual_mov_b32 v0, v47 :: v_dual_add_nc_u32 v31, 0x276, v56
	v_lshlrev_b64_e32 v[9:10], 3, v[40:41]
	s_delay_alu instid0(VALU_DEP_2) | instskip(NEXT) | instid1(VALU_DEP_4)
	v_mad_co_u64_u32 v[40:41], null, s19, v78, v[0:1]
	v_dual_mov_b32 v0, v45 :: v_dual_mov_b32 v43, v48
	s_delay_alu instid0(VALU_DEP_4) | instskip(NEXT) | instid1(VALU_DEP_4)
	v_mad_co_u64_u32 v[48:49], null, s18, v31, 0
	v_add_co_u32 v9, s0, v55, v9
	s_delay_alu instid0(VALU_DEP_3) | instskip(NEXT) | instid1(VALU_DEP_4)
	v_mad_co_u64_u32 v[50:51], null, s19, v50, v[0:1]
	v_lshlrev_b64_e32 v[41:42], 3, v[42:43]
	v_mad_co_u64_u32 v[51:52], null, s18, v60, 0
	v_dual_mov_b32 v47, v40 :: v_dual_mov_b32 v0, v49
	s_wait_alu 0xf1ff
	v_add_co_ci_u32_e64 v10, s0, v65, v10, s0
	s_delay_alu instid0(VALU_DEP_4)
	v_add_co_u32 v40, s0, v55, v41
	s_wait_alu 0xf1ff
	v_add_co_ci_u32_e64 v41, s0, v65, v42, s0
	v_lshlrev_b64_e32 v[42:43], 3, v[46:47]
	v_mad_co_u64_u32 v[46:47], null, s19, v31, v[0:1]
	v_dual_mov_b32 v0, v52 :: v_dual_mov_b32 v45, v50
	v_add_nc_u32_e32 v50, 0x5a9, v56
	s_delay_alu instid0(VALU_DEP_4) | instskip(NEXT) | instid1(VALU_DEP_3)
	v_add_co_u32 v42, s0, v55, v42
	v_mad_co_u64_u32 v[60:61], null, s19, v60, v[0:1]
	v_mov_b32_e32 v49, v46
	s_delay_alu instid0(VALU_DEP_4)
	v_mad_co_u64_u32 v[61:62], null, s18, v50, 0
	v_mov_b32_e32 v0, v54
	v_lshlrev_b64_e32 v[44:45], 3, v[44:45]
	s_wait_alu 0xf1ff
	v_add_co_ci_u32_e64 v43, s0, v65, v43, s0
	v_mov_b32_e32 v52, v60
	v_mad_co_u64_u32 v[46:47], null, s19, v79, v[0:1]
	v_mov_b32_e32 v0, v62
	v_add_co_u32 v63, s0, v55, v44
	s_wait_alu 0xf1ff
	v_add_co_ci_u32_e64 v64, s0, v65, v45, s0
	v_lshlrev_b64_e32 v[44:45], 3, v[48:49]
	v_mad_co_u64_u32 v[47:48], null, s19, v50, v[0:1]
	v_mov_b32_e32 v54, v46
	v_lshlrev_b64_e32 v[48:49], 3, v[51:52]
	s_delay_alu instid0(VALU_DEP_4)
	v_add_co_u32 v50, s0, v55, v44
	s_wait_alu 0xf1ff
	v_add_co_ci_u32_e64 v51, s0, v65, v45, s0
	v_mov_b32_e32 v62, v47
	v_lshlrev_b64_e32 v[44:45], 3, v[53:54]
	v_add_co_u32 v48, s0, v55, v48
	s_wait_alu 0xf1ff
	v_add_co_ci_u32_e64 v49, s0, v65, v49, s0
	v_lshlrev_b64_e32 v[46:47], 3, v[61:62]
	s_delay_alu instid0(VALU_DEP_4) | instskip(SKIP_2) | instid1(VALU_DEP_3)
	v_add_co_u32 v60, s0, v55, v44
	s_wait_alu 0xf1ff
	v_add_co_ci_u32_e64 v61, s0, v65, v45, s0
	v_add_co_u32 v69, s0, v55, v46
	s_wait_alu 0xf1ff
	v_add_co_ci_u32_e64 v70, s0, v65, v47, s0
	s_clause 0x7
	global_load_b64 v[44:45], v[9:10], off
	global_load_b64 v[54:55], v[40:41], off
	;; [unrolled: 1-line block ×8, first 2 shown]
.LBB0_13:
	s_or_b32 exec_lo, exec_lo, s1
	s_wait_loadcnt 0x16
	v_sub_f32_e32 v10, v1, v5
	v_sub_f32_e32 v82, v2, v6
	s_wait_loadcnt 0x14
	v_sub_f32_e32 v6, v3, v7
	v_sub_f32_e32 v84, v4, v8
	s_wait_loadcnt 0xe
	v_dual_sub_f32 v8, v21, v25 :: v_dual_sub_f32 v25, v22, v26
	v_sub_f32_e32 v88, v12, v16
	v_fma_f32 v5, v3, 2.0, -v6
	v_sub_f32_e32 v3, v11, v15
	s_wait_loadcnt 0xa
	v_sub_f32_e32 v15, v27, v38
	v_fma_f32 v9, v1, 2.0, -v10
	v_dual_sub_f32 v1, v13, v17 :: v_dual_sub_f32 v86, v14, v18
	s_wait_loadcnt 0x8
	v_sub_f32_e32 v17, v29, v36
	v_fma_f32 v87, v12, 2.0, -v88
	s_wait_loadcnt 0x0
	v_dual_sub_f32 v94, v30, v37 :: v_dual_sub_f32 v37, v40, v48
	v_fma_f32 v0, v13, 2.0, -v1
	v_sub_f32_e32 v13, v19, v23
	v_fma_f32 v85, v14, 2.0, -v86
	v_sub_f32_e32 v90, v20, v24
	;; [unrolled: 2-line block ×4, first 2 shown]
	v_dual_sub_f32 v23, v46, v50 :: v_dual_sub_f32 v92, v28, v39
	v_fma_f32 v16, v29, 2.0, -v17
	v_fma_f32 v93, v30, 2.0, -v94
	s_delay_alu instid0(VALU_DEP_4)
	v_fma_f32 v18, v44, 2.0, -v19
	v_sub_f32_e32 v29, v43, v53
	v_sub_f32_e32 v44, v47, v51
	v_lshl_add_u32 v30, v56, 3, 0
	v_fma_f32 v26, v45, 2.0, -v27
	v_lshl_add_u32 v45, v58, 3, 0
	v_fma_f32 v7, v21, 2.0, -v8
	v_fma_f32 v24, v22, 2.0, -v25
	v_sub_f32_e32 v21, v42, v52
	v_fma_f32 v22, v46, 2.0, -v23
	v_lshl_add_u32 v46, v59, 3, 0
	v_fma_f32 v81, v2, 2.0, -v82
	v_fma_f32 v2, v11, 2.0, -v3
	v_lshl_add_u32 v69, v57, 3, 0
	v_lshl_add_u32 v54, v56, 2, 0
	s_load_b64 s[2:3], s[2:3], 0x0
	v_fma_f32 v91, v28, 2.0, -v92
	ds_store_b64 v30, v[9:10]
	ds_store_b64 v45, v[5:6]
	;; [unrolled: 1-line block ×3, first 2 shown]
	v_lshlrev_b32_e32 v0, 2, v71
	v_fma_f32 v28, v43, 2.0, -v29
	v_fma_f32 v43, v47, 2.0, -v44
	v_lshl_add_u32 v47, v71, 3, 0
	v_lshl_add_u32 v48, v66, 3, 0
	v_fma_f32 v89, v20, 2.0, -v90
	v_fma_f32 v20, v42, 2.0, -v21
	v_dual_sub_f32 v42, v41, v49 :: v_dual_add_nc_u32 v55, 0xa00, v54
	v_lshl_add_u32 v49, v67, 3, 0
	v_lshl_add_u32 v50, v68, 3, 0
	ds_store_b64 v69, v[2:3]
	ds_store_b64 v47, v[7:8]
	;; [unrolled: 1-line block ×5, first 2 shown]
	v_lshl_add_u32 v51, v80, 3, 0
	v_add_nc_u32_e32 v61, 0xc00, v54
	v_lshlrev_b32_e32 v8, 2, v68
	v_lshl_add_u32 v52, v78, 3, 0
	v_lshl_add_u32 v53, v31, 3, 0
	v_fma_f32 v36, v40, 2.0, -v37
	v_lshl_add_u32 v95, v79, 3, 0
	v_add_nc_u32_e32 v63, 0xe00, v54
	ds_store_b64 v51, v[18:19]
	ds_store_b64 v52, v[20:21]
	;; [unrolled: 1-line block ×4, first 2 shown]
	global_wb scope:SCOPE_SE
	s_wait_dscnt 0x0
	s_wait_kmcnt 0x0
	s_barrier_signal -1
	s_barrier_wait -1
	global_inv scope:SCOPE_SE
	ds_load_2addr_b32 v[2:3], v61 offset0:114 offset1:177
	v_sub_nc_u32_e32 v76, v50, v8
	v_lshlrev_b32_e32 v8, 2, v80
	v_lshlrev_b32_e32 v10, 2, v78
	v_fma_f32 v83, v4, 2.0, -v84
	ds_load_2addr_b32 v[4:5], v55 offset0:116 offset1:179
	v_lshlrev_b32_e32 v70, 2, v57
	v_lshlrev_b32_e32 v11, 2, v31
	;; [unrolled: 1-line block ×3, first 2 shown]
	v_sub_nc_u32_e32 v73, v47, v0
	v_lshlrev_b32_e32 v0, 2, v66
	v_lshlrev_b32_e32 v1, 2, v67
	v_add_nc_u32_e32 v64, 0x1000, v54
	ds_load_2addr_b32 v[6:7], v63 offset0:112 offset1:175
	v_add_nc_u32_e32 v37, 0x1200, v54
	v_add_nc_u32_e32 v65, 0x1400, v54
	v_lshl_add_u32 v60, v58, 2, 0
	v_sub_nc_u32_e32 v77, v51, v8
	v_lshl_add_u32 v62, v59, 2, 0
	v_sub_nc_u32_e32 v38, v52, v10
	v_sub_nc_u32_e32 v72, v69, v70
	;; [unrolled: 1-line block ×6, first 2 shown]
	ds_load_2addr_b32 v[0:1], v64 offset0:110 offset1:173
	ds_load_b32 v14, v54
	ds_load_b32 v15, v60
	;; [unrolled: 1-line block ×8, first 2 shown]
	ds_load_2addr_b32 v[8:9], v37 offset0:108 offset1:171
	ds_load_2addr_b32 v[10:11], v65 offset0:106 offset1:169
	ds_load_b32 v20, v77
	ds_load_b32 v21, v38
	;; [unrolled: 1-line block ×4, first 2 shown]
	global_wb scope:SCOPE_SE
	s_wait_dscnt 0x0
	s_barrier_signal -1
	s_barrier_wait -1
	global_inv scope:SCOPE_SE
	ds_store_b64 v30, v[81:82]
	ds_store_b64 v45, v[83:84]
	;; [unrolled: 1-line block ×10, first 2 shown]
	v_and_b32_e32 v30, 1, v56
	v_and_b32_e32 v51, 1, v58
	v_fma_f32 v41, v41, 2.0, -v42
	ds_store_b64 v53, v[43:44]
	ds_store_b64 v95, v[41:42]
	v_lshlrev_b32_e32 v24, 3, v30
	v_lshlrev_b32_e32 v26, 3, v51
	global_wb scope:SCOPE_SE
	s_wait_dscnt 0x0
	s_barrier_signal -1
	s_barrier_wait -1
	global_inv scope:SCOPE_SE
	s_clause 0x1
	global_load_b64 v[24:25], v24, s[4:5]
	global_load_b64 v[26:27], v26, s[4:5]
	v_and_b32_e32 v52, 1, v57
	v_and_b32_e32 v53, 1, v66
	v_lshlrev_b32_e32 v86, 1, v66
	v_and_b32_e32 v92, 1, v68
	v_and_b32_e32 v93, 1, v78
	v_lshlrev_b32_e32 v28, 3, v52
	v_lshlrev_b32_e32 v36, 3, v53
	v_and_or_b32 v53, 0x2fc, v86, v53
	v_and_b32_e32 v94, 1, v79
	ds_load_2addr_b32 v[49:50], v55 offset0:116 offset1:179
	v_lshlrev_b32_e32 v84, 1, v57
	v_lshlrev_b32_e32 v88, 1, v68
	v_lshl_add_u32 v120, v53, 2, 0
	v_lshlrev_b32_e32 v90, 1, v78
	v_lshlrev_b32_e32 v83, 1, v79
	v_and_or_b32 v102, 0x1fc, v84, v52
	v_and_or_b32 v105, 0x3fc, v88, v92
	v_lshlrev_b32_e32 v87, 1, v67
	v_and_or_b32 v107, 0x4fc, v90, v93
	v_and_or_b32 v108, 0x5fc, v83, v94
	v_lshl_add_u32 v102, v102, 2, 0
	v_lshl_add_u32 v105, v105, 2, 0
	v_and_b32_e32 v78, 3, v78
	v_lshl_add_u32 v107, v107, 2, 0
	v_lshl_add_u32 v108, v108, 2, 0
	v_cmp_gt_u32_e64 s0, 9, v56
	global_load_b64 v[41:42], v36, s[4:5]
	v_lshlrev_b32_e32 v36, 3, v92
	v_lshlrev_b32_e32 v85, 1, v71
	v_and_b32_e32 v79, 3, v79
	global_load_b64 v[43:44], v36, s[4:5]
	v_lshlrev_b32_e32 v36, 3, v93
	v_lshlrev_b32_e32 v81, 1, v58
	global_load_b64 v[45:46], v36, s[4:5]
	v_lshlrev_b32_e32 v36, 3, v94
	v_and_or_b32 v100, 0xfc, v81, v51
	v_lshlrev_b32_e32 v91, 1, v31
	global_load_b64 v[47:48], v36, s[4:5]
	v_lshl_add_u32 v100, v100, 2, 0
	s_wait_loadcnt 0x5
	v_mul_f32_e32 v53, v0, v25
	global_load_b64 v[28:29], v28, s[4:5]
	s_wait_loadcnt_dscnt 0x500
	v_dual_mul_f32 v110, v50, v27 :: v_dual_mul_f32 v111, v4, v25
	ds_load_2addr_b32 v[51:52], v61 offset0:114 offset1:177
	ds_load_2addr_b32 v[92:93], v63 offset0:112 offset1:175
	;; [unrolled: 1-line block ×4, first 2 shown]
	v_mul_f32_e32 v27, v5, v27
	v_mul_f32_e32 v109, v49, v25
	v_fma_f32 v5, v5, v26, -v110
	v_fmac_f32_e32 v111, v49, v24
	v_mul_f32_e32 v49, v2, v25
	v_fmac_f32_e32 v27, v50, v26
	v_fma_f32 v4, v4, v24, -v109
	v_dual_sub_f32 v5, v15, v5 :: v_dual_lshlrev_b32 v82, 1, v59
	s_delay_alu instid0(VALU_DEP_1)
	v_fma_f32 v15, v15, 2.0, -v5
	s_wait_dscnt 0x3
	v_mul_f32_e32 v26, v51, v25
	v_fmac_f32_e32 v49, v51, v24
	s_wait_dscnt 0x1
	v_fmac_f32_e32 v53, v94, v24
	s_delay_alu instid0(VALU_DEP_3) | instskip(SKIP_4) | instid1(VALU_DEP_2)
	v_fma_f32 v2, v2, v24, -v26
	v_mul_f32_e32 v26, v92, v25
	s_wait_loadcnt 0x0
	v_mul_f32_e32 v50, v52, v29
	v_mul_f32_e32 v29, v3, v29
	v_fma_f32 v3, v3, v28, -v50
	s_delay_alu instid0(VALU_DEP_2)
	v_dual_mul_f32 v50, v93, v42 :: v_dual_fmac_f32 v29, v52, v28
	v_mul_f32_e32 v28, v7, v42
	v_mul_f32_e32 v42, v6, v25
	ds_load_2addr_b32 v[98:99], v65 offset0:106 offset1:169
	v_fma_f32 v7, v7, v41, -v50
	ds_load_b32 v109, v54
	ds_load_b32 v110, v60
	;; [unrolled: 1-line block ×8, first 2 shown]
	v_fmac_f32_e32 v28, v93, v41
	v_dual_mul_f32 v41, v94, v25 :: v_dual_mul_f32 v50, v95, v44
	v_mul_f32_e32 v44, v1, v44
	v_fma_f32 v6, v6, v24, -v26
	ds_load_b32 v26, v77
	ds_load_b32 v51, v38
	;; [unrolled: 1-line block ×4, first 2 shown]
	v_fma_f32 v0, v0, v24, -v41
	s_wait_dscnt 0xd
	v_mul_f32_e32 v41, v96, v25
	v_dual_fmac_f32 v44, v95, v43 :: v_dual_lshlrev_b32 v89, 1, v80
	v_fmac_f32_e32 v42, v92, v24
	v_fma_f32 v1, v1, v43, -v50
	v_dual_mul_f32 v50, v8, v25 :: v_dual_mul_f32 v43, v97, v46
	v_mul_f32_e32 v92, v9, v46
	v_fma_f32 v8, v8, v24, -v41
	v_mul_f32_e32 v93, v11, v48
	v_lshlrev_b32_e32 v36, 1, v56
	s_wait_dscnt 0xc
	v_dual_mul_f32 v46, v98, v25 :: v_dual_mul_f32 v41, v99, v48
	v_mul_f32_e32 v25, v10, v25
	v_fmac_f32_e32 v93, v99, v47
	v_and_or_b32 v80, 0x7c, v36, v30
	v_fma_f32 v9, v9, v45, -v43
	v_fma_f32 v10, v10, v24, -v46
	;; [unrolled: 1-line block ×3, first 2 shown]
	s_wait_dscnt 0x8
	v_dual_sub_f32 v4, v14, v4 :: v_dual_sub_f32 v29, v113, v29
	v_and_or_b32 v101, 0x1fc, v82, v30
	v_dual_sub_f32 v2, v16, v2 :: v_dual_sub_f32 v3, v17, v3
	v_and_or_b32 v103, 0x3fc, v85, v30
	v_fmac_f32_e32 v25, v98, v24
	v_dual_sub_f32 v6, v18, v6 :: v_dual_sub_f32 v1, v13, v1
	v_and_or_b32 v104, 0x3fc, v87, v30
	v_and_or_b32 v106, 0x7fc, v89, v30
	;; [unrolled: 1-line block ×3, first 2 shown]
	v_lshl_add_u32 v119, v80, 2, 0
	v_dual_fmac_f32 v50, v96, v24 :: v_dual_sub_f32 v11, v23, v11
	v_sub_f32_e32 v7, v19, v7
	s_wait_dscnt 0x7
	v_dual_sub_f32 v24, v109, v111 :: v_dual_sub_f32 v95, v114, v42
	v_sub_f32_e32 v0, v12, v0
	v_dual_sub_f32 v8, v20, v8 :: v_dual_sub_f32 v9, v21, v9
	v_sub_f32_e32 v10, v22, v10
	v_fma_f32 v14, v14, 2.0, -v4
	v_dual_fmac_f32 v92, v97, v45 :: v_dual_sub_f32 v27, v110, v27
	v_lshl_add_u32 v101, v101, 2, 0
	s_wait_dscnt 0x4
	v_dual_sub_f32 v94, v112, v49 :: v_dual_sub_f32 v97, v117, v44
	v_fma_f32 v16, v16, 2.0, -v2
	v_fma_f32 v17, v17, 2.0, -v3
	v_lshl_add_u32 v103, v103, 2, 0
	v_fma_f32 v18, v18, 2.0, -v6
	v_fma_f32 v13, v13, 2.0, -v1
	global_wb scope:SCOPE_SE
	s_wait_dscnt 0x0
	s_barrier_signal -1
	s_barrier_wait -1
	global_inv scope:SCOPE_SE
	v_lshl_add_u32 v104, v104, 2, 0
	v_lshl_add_u32 v106, v106, 2, 0
	;; [unrolled: 1-line block ×3, first 2 shown]
	v_sub_f32_e32 v28, v115, v28
	v_fma_f32 v19, v19, 2.0, -v7
	v_fma_f32 v99, v109, 2.0, -v24
	;; [unrolled: 1-line block ×7, first 2 shown]
	ds_store_2addr_b32 v119, v14, v4 offset1:2
	ds_store_2addr_b32 v100, v15, v5 offset1:2
	;; [unrolled: 1-line block ×12, first 2 shown]
	v_sub_f32_e32 v13, v52, v25
	v_dual_sub_f32 v96, v116, v53 :: v_dual_lshlrev_b32 v21, 3, v78
	v_fma_f32 v109, v110, 2.0, -v27
	v_sub_f32_e32 v12, v51, v92
	v_sub_f32_e32 v14, v118, v93
	v_fma_f32 v110, v112, 2.0, -v94
	v_sub_f32_e32 v98, v26, v50
	v_fma_f32 v111, v113, 2.0, -v29
	v_fma_f32 v112, v114, 2.0, -v95
	v_and_b32_e32 v93, 3, v59
	v_fma_f32 v113, v115, 2.0, -v28
	global_wb scope:SCOPE_SE
	s_wait_dscnt 0x0
	s_barrier_signal -1
	s_barrier_wait -1
	global_inv scope:SCOPE_SE
	ds_load_b32 v80, v54
	ds_load_b32 v53, v60
	;; [unrolled: 1-line block ×12, first 2 shown]
	ds_load_2addr_b32 v[6:7], v55 offset0:116 offset1:179
	ds_load_2addr_b32 v[10:11], v61 offset0:114 offset1:177
	;; [unrolled: 1-line block ×6, first 2 shown]
	global_wb scope:SCOPE_SE
	s_wait_dscnt 0x0
	s_barrier_signal -1
	s_barrier_wait -1
	global_inv scope:SCOPE_SE
	ds_store_2addr_b32 v119, v99, v24 offset1:2
	ds_store_2addr_b32 v100, v109, v27 offset1:2
	;; [unrolled: 1-line block ×4, first 2 shown]
	v_and_b32_e32 v99, 3, v31
	v_fma_f32 v18, v52, 2.0, -v13
	v_and_b32_e32 v94, 3, v57
	v_fma_f32 v114, v116, 2.0, -v96
	v_lshlrev_b32_e32 v29, 3, v79
	v_fma_f32 v19, v118, 2.0, -v14
	v_fma_f32 v15, v117, 2.0, -v97
	;; [unrolled: 1-line block ×4, first 2 shown]
	ds_store_2addr_b32 v103, v112, v95 offset1:2
	ds_store_2addr_b32 v120, v113, v28 offset1:2
	;; [unrolled: 1-line block ×6, first 2 shown]
	v_lshlrev_b32_e32 v12, 3, v93
	ds_store_2addr_b32 v30, v18, v13 offset1:2
	ds_store_2addr_b32 v108, v19, v14 offset1:2
	v_lshlrev_b32_e32 v13, 3, v94
	global_wb scope:SCOPE_SE
	s_wait_dscnt 0x0
	s_barrier_signal -1
	s_barrier_wait -1
	v_and_b32_e32 v95, 3, v67
	global_inv scope:SCOPE_SE
	s_clause 0x1
	global_load_b64 v[14:15], v12, s[4:5] offset:16
	global_load_b64 v[12:13], v13, s[4:5] offset:16
	v_and_b32_e32 v96, 3, v68
	v_and_b32_e32 v97, 3, v56
	v_lshlrev_b32_e32 v16, 3, v95
	v_and_b32_e32 v98, 3, v66
	v_and_or_b32 v93, 0x1f8, v82, v93
	v_lshlrev_b32_e32 v18, 3, v96
	v_lshlrev_b32_e32 v19, 3, v97
	global_load_b64 v[16:17], v16, s[4:5] offset:16
	v_and_or_b32 v94, 0x1f8, v84, v94
	v_and_or_b32 v82, 0x3f8, v87, v95
	global_load_b64 v[22:23], v18, s[4:5] offset:16
	v_and_b32_e32 v92, 3, v58
	global_load_b64 v[18:19], v19, s[4:5] offset:16
	v_lshlrev_b32_e32 v26, 3, v98
	v_lshlrev_b32_e32 v28, 3, v99
	v_and_or_b32 v84, 0x3f8, v88, v96
	v_lshlrev_b32_e32 v20, 3, v92
	s_clause 0x4
	global_load_b64 v[24:25], v20, s[4:5] offset:16
	global_load_b64 v[20:21], v21, s[4:5] offset:16
	global_load_b64 v[26:27], v26, s[4:5] offset:16
	global_load_b64 v[30:31], v28, s[4:5] offset:16
	global_load_b64 v[28:29], v29, s[4:5] offset:16
	v_and_or_b32 v92, 0xf8, v81, v92
	v_and_or_b32 v81, 0x2f8, v86, v98
	;; [unrolled: 1-line block ×7, first 2 shown]
	v_lshl_add_u32 v98, v92, 2, 0
	v_lshl_add_u32 v99, v93, 2, 0
	;; [unrolled: 1-line block ×10, first 2 shown]
	ds_load_2addr_b32 v[81:82], v61 offset0:114 offset1:177
	ds_load_2addr_b32 v[83:84], v64 offset0:110 offset1:173
	;; [unrolled: 1-line block ×6, first 2 shown]
	ds_load_b32 v37, v54
	ds_load_b32 v93, v60
	;; [unrolled: 1-line block ×12, first 2 shown]
	v_and_b32_e32 v51, 7, v58
	v_and_b32_e32 v52, 7, v59
	v_and_or_b32 v95, 0x78, v36, v97
	v_add_nc_u32_e32 v78, 0x800, v54
	v_lshl_add_u32 v94, v94, 2, 0
	global_wb scope:SCOPE_SE
	s_wait_loadcnt_dscnt 0x0
	s_barrier_signal -1
	v_lshl_add_u32 v95, v95, 2, 0
	s_barrier_wait -1
	global_inv scope:SCOPE_SE
	v_mul_f32_e32 v114, v81, v15
	v_mul_f32_e32 v15, v10, v15
	v_lshlrev_b32_e32 v79, 4, v51
	v_mul_f32_e32 v115, v82, v13
	v_mul_f32_e32 v13, v11, v13
	v_fma_f32 v10, v10, v14, -v114
	v_fmac_f32_e32 v15, v81, v14
	s_delay_alu instid0(VALU_DEP_4)
	v_fma_f32 v11, v11, v12, -v115
	v_mul_f32_e32 v116, v83, v17
	v_dual_mul_f32 v14, v8, v17 :: v_dual_fmac_f32 v13, v82, v12
	v_mul_f32_e32 v17, v84, v23
	v_mul_f32_e32 v23, v9, v23
	v_mul_f32_e32 v81, v85, v19
	v_mul_f32_e32 v82, v6, v19
	v_fma_f32 v8, v8, v16, -v116
	v_fma_f32 v9, v9, v22, -v17
	v_mul_f32_e32 v17, v4, v19
	v_dual_fmac_f32 v23, v84, v22 :: v_dual_fmac_f32 v14, v83, v16
	v_mul_f32_e32 v12, v86, v25
	v_mul_f32_e32 v22, v90, v21
	;; [unrolled: 1-line block ×3, first 2 shown]
	v_lshlrev_b32_e32 v97, 4, v52
	v_dual_mul_f32 v25, v7, v25 :: v_dual_mul_f32 v114, v88, v27
	v_dual_mul_f32 v16, v5, v27 :: v_dual_fmac_f32 v17, v87, v18
	v_mul_f32_e32 v27, v87, v19
	v_mul_f32_e32 v83, v89, v19
	v_mul_f32_e32 v19, v2, v19
	v_dual_mul_f32 v84, v91, v31 :: v_dual_fmac_f32 v21, v90, v20
	v_fma_f32 v7, v7, v24, -v12
	v_dual_mul_f32 v12, v0, v31 :: v_dual_sub_f32 v17, v109, v17
	v_mul_f32_e32 v31, v92, v29
	v_fma_f32 v6, v6, v18, -v81
	v_dual_fmac_f32 v25, v86, v24 :: v_dual_mul_f32 v24, v1, v29
	v_dual_sub_f32 v15, v96, v15 :: v_dual_fmac_f32 v82, v85, v18
	v_sub_f32_e32 v13, v108, v13
	v_fma_f32 v5, v5, v26, -v114
	v_dual_fmac_f32 v16, v88, v26 :: v_dual_sub_f32 v7, v53, v7
	v_fma_f32 v4, v4, v18, -v27
	v_fma_f32 v2, v2, v18, -v83
	v_fmac_f32_e32 v19, v89, v18
	v_fma_f32 v3, v3, v20, -v22
	v_fma_f32 v0, v0, v30, -v84
	v_dual_fmac_f32 v12, v91, v30 :: v_dual_sub_f32 v11, v49, v11
	v_fma_f32 v1, v1, v28, -v31
	v_dual_fmac_f32 v24, v92, v28 :: v_dual_sub_f32 v5, v47, v5
	v_dual_sub_f32 v6, v80, v6 :: v_dual_sub_f32 v9, v45, v9
	v_dual_sub_f32 v18, v37, v82 :: v_dual_sub_f32 v3, v43, v3
	v_sub_f32_e32 v20, v93, v25
	v_dual_sub_f32 v10, v50, v10 :: v_dual_sub_f32 v19, v113, v19
	v_dual_sub_f32 v4, v48, v4 :: v_dual_sub_f32 v21, v38, v21
	;; [unrolled: 1-line block ×3, first 2 shown]
	v_sub_f32_e32 v8, v46, v8
	v_sub_f32_e32 v2, v44, v2
	;; [unrolled: 1-line block ×7, first 2 shown]
	v_fma_f32 v24, v80, 2.0, -v6
	v_fma_f32 v25, v37, 2.0, -v18
	;; [unrolled: 1-line block ×24, first 2 shown]
	ds_store_2addr_b32 v95, v24, v6 offset1:4
	ds_store_2addr_b32 v98, v26, v7 offset1:4
	;; [unrolled: 1-line block ×12, first 2 shown]
	global_wb scope:SCOPE_SE
	s_wait_dscnt 0x0
	s_barrier_signal -1
	s_barrier_wait -1
	global_inv scope:SCOPE_SE
	ds_load_b32 v81, v54
	ds_load_2addr_b32 v[37:38], v61 offset0:177 offset1:240
	ds_load_2addr_b32 v[49:50], v78 offset0:55 offset1:118
	;; [unrolled: 1-line block ×7, first 2 shown]
	ds_load_b32 v84, v72
	ds_load_b32 v83, v73
	;; [unrolled: 1-line block ×8, first 2 shown]
	ds_load_b32 v93, v54 offset:5796
	global_wb scope:SCOPE_SE
	s_wait_dscnt 0x0
	s_barrier_signal -1
	s_barrier_wait -1
	global_inv scope:SCOPE_SE
	ds_store_2addr_b32 v95, v25, v18 offset1:4
	ds_store_2addr_b32 v98, v27, v20 offset1:4
	;; [unrolled: 1-line block ×12, first 2 shown]
	global_wb scope:SCOPE_SE
	s_wait_dscnt 0x0
	s_barrier_signal -1
	s_barrier_wait -1
	global_inv scope:SCOPE_SE
	s_clause 0x1
	global_load_b128 v[8:11], v79, s[4:5] offset:48
	global_load_b128 v[0:3], v97, s[4:5] offset:48
	v_and_b32_e32 v97, 7, v66
	v_lshrrev_b32_e32 v90, 3, v58
	v_lshrrev_b32_e32 v92, 3, v59
	;; [unrolled: 1-line block ×6, first 2 shown]
	v_and_b32_e32 v89, 7, v57
	v_lshrrev_b32_e32 v88, 3, v56
	v_and_b32_e32 v105, 0xff, v58
	v_and_b32_e32 v94, 0xff, v57
	v_and_b32_e32 v91, 7, v71
	v_mul_lo_u32 v106, v90, 24
	v_mul_lo_u32 v107, v92, 24
	;; [unrolled: 1-line block ×6, first 2 shown]
	v_lshlrev_b32_e32 v4, 4, v89
	v_and_b32_e32 v98, 7, v67
	v_and_b32_e32 v87, 7, v56
	v_mul_u32_u24_e32 v88, 24, v88
	v_mul_lo_u16 v90, 0xab, v105
	v_mul_lo_u16 v105, 0xab, v94
	v_lshlrev_b32_e32 v5, 4, v91
	s_clause 0x1
	global_load_b128 v[12:15], v4, s[4:5] offset:48
	global_load_b128 v[4:7], v5, s[4:5] offset:48
	v_lshlrev_b32_e32 v24, 4, v87
	v_or_b32_e32 v109, v88, v87
	v_lshrrev_b16 v87, 12, v90
	v_lshrrev_b16 v90, 12, v105
	v_or_b32_e32 v105, v106, v51
	v_or_b32_e32 v106, v107, v52
	;; [unrolled: 1-line block ×5, first 2 shown]
	ds_load_2addr_b32 v[51:52], v78 offset0:55 offset1:118
	v_and_b32_e32 v99, 7, v68
	v_and_b32_e32 v79, 0xff, v59
	v_lshrrev_b32_e32 v104, 3, v68
	v_mul_lo_u16 v102, v87, 24
	v_lshl_add_u32 v105, v105, 2, 0
	v_lshl_add_u32 v106, v106, 2, 0
	v_mul_lo_u16 v92, 0xab, v79
	v_mul_lo_u32 v104, v104, 24
	v_sub_nc_u16 v102, v58, v102
	v_mul_lo_u16 v107, v90, 24
	v_mul_lo_u16 v79, v79, 57
	v_lshrrev_b16 v88, 12, v92
	s_delay_alu instid0(VALU_DEP_2)
	v_lshrrev_b16 v79, 12, v79
	s_wait_loadcnt 0x3
	v_dual_mul_f32 v116, v47, v11 :: v_dual_mul_f32 v115, v49, v9
	v_lshlrev_b32_e32 v16, 4, v97
	v_lshlrev_b32_e32 v20, 4, v98
	v_or_b32_e32 v101, v103, v98
	ds_load_2addr_b32 v[97:98], v64 offset0:47 offset1:110
	s_wait_dscnt 0x1
	v_mul_f32_e32 v114, v51, v9
	v_fmac_f32_e32 v115, v51, v8
	global_load_b128 v[16:19], v16, s[4:5] offset:48
	s_wait_loadcnt 0x3
	v_mul_f32_e32 v51, v50, v1
	global_load_b128 v[24:27], v24, s[4:5] offset:48
	v_lshlrev_b32_e32 v28, 4, v99
	v_and_b32_e32 v95, 0xffff, v71
	v_mul_lo_u16 v103, v88, 24
	v_fmac_f32_e32 v51, v52, v0
	v_or_b32_e32 v99, v104, v99
	global_load_b128 v[28:31], v28, s[4:5] offset:48
	v_lshl_add_u32 v104, v109, 2, 0
	v_sub_nc_u16 v103, v59, v103
	v_lshl_add_u32 v109, v91, 2, 0
	v_and_b32_e32 v91, 0xff, v102
	v_lshl_add_u32 v110, v101, 2, 0
	v_lshl_add_u32 v111, v99, 2, 0
	v_fma_f32 v49, v49, v8, -v114
	s_wait_dscnt 0x0
	v_mul_f32_e32 v9, v97, v11
	v_mul_f32_e32 v11, v52, v1
	global_load_b128 v[20:23], v20, s[4:5] offset:48
	v_fmac_f32_e32 v116, v97, v10
	v_mul_u32_u24_e32 v108, 0xaaab, v95
	v_fma_f32 v47, v47, v10, -v9
	v_mul_f32_e32 v10, v98, v3
	v_fma_f32 v50, v50, v0, -v11
	v_mul_f32_e32 v3, v48, v3
	v_lshrrev_b32_e32 v92, 20, v108
	v_lshl_add_u32 v108, v89, 2, 0
	v_and_b32_e32 v89, 0xff, v103
	v_lshl_add_u32 v103, v100, 2, 0
	ds_load_2addr_b32 v[99:100], v78 offset0:181 offset1:244
	ds_load_2addr_b32 v[101:102], v64 offset0:173 offset1:236
	ds_load_2addr_b32 v[8:9], v61 offset0:51 offset1:114
	ds_load_2addr_b32 v[0:1], v65 offset0:43 offset1:106
	v_dual_fmac_f32 v3, v98, v2 :: v_dual_lshlrev_b32 v112, 4, v91
	v_fma_f32 v48, v48, v2, -v10
	s_wait_loadcnt 0x5
	v_mul_f32_e32 v2, v45, v13
	ds_load_2addr_b32 v[10:11], v61 offset0:177 offset1:240
	v_mul_lo_u16 v94, v94, 57
	v_mul_u32_u24_e32 v95, 0xe38f, v95
	s_delay_alu instid0(VALU_DEP_2) | instskip(NEXT) | instid1(VALU_DEP_2)
	v_lshrrev_b16 v94, 12, v94
	v_lshrrev_b32_e32 v95, 22, v95
	s_wait_dscnt 0x3
	v_dual_mul_f32 v52, v99, v13 :: v_dual_mul_f32 v13, v101, v15
	v_mul_f32_e32 v15, v43, v15
	v_dual_fmac_f32 v2, v99, v12 :: v_dual_lshlrev_b32 v113, 4, v89
	s_delay_alu instid0(VALU_DEP_3) | instskip(NEXT) | instid1(VALU_DEP_4)
	v_fma_f32 v45, v45, v12, -v52
	v_fma_f32 v12, v43, v14, -v13
	s_delay_alu instid0(VALU_DEP_4)
	v_fmac_f32_e32 v15, v101, v14
	ds_load_b32 v13, v77
	ds_load_b32 v14, v76
	s_wait_loadcnt 0x4
	v_mul_f32_e32 v97, v100, v5
	v_mul_f32_e32 v5, v46, v5
	;; [unrolled: 1-line block ×4, first 2 shown]
	s_delay_alu instid0(VALU_DEP_4) | instskip(SKIP_1) | instid1(VALU_DEP_2)
	v_fma_f32 v46, v46, v4, -v97
	s_wait_loadcnt_dscnt 0x303
	v_dual_fmac_f32 v7, v102, v6 :: v_dual_mul_f32 v102, v0, v19
	v_fmac_f32_e32 v5, v100, v4
	ds_load_b32 v4, v72
	ds_load_b32 v52, v73
	;; [unrolled: 1-line block ×4, first 2 shown]
	v_mul_f32_e32 v19, v39, v19
	v_mul_f32_e32 v97, v8, v17
	s_wait_loadcnt 0x0
	s_delay_alu instid0(VALU_DEP_2)
	v_dual_fmac_f32 v19, v0, v18 :: v_dual_mul_f32 v114, v9, v21
	v_fma_f32 v43, v44, v6, -v43
	ds_load_b32 v6, v62
	ds_load_b32 v100, v60
	ds_load_b32 v44, v54 offset:5796
	ds_load_b32 v101, v54
	v_mul_f32_e32 v17, v41, v17
	v_mul_f32_e32 v0, v42, v21
	s_wait_dscnt 0x9
	v_mul_f32_e32 v21, v13, v25
	v_mul_f32_e32 v25, v96, v25
	global_wb scope:SCOPE_SE
	s_wait_dscnt 0x0
	s_barrier_signal -1
	v_dual_fmac_f32 v0, v9, v20 :: v_dual_mul_f32 v9, v38, v27
	v_fmac_f32_e32 v25, v13, v24
	v_fmac_f32_e32 v17, v8, v16
	v_fma_f32 v8, v39, v18, -v102
	v_mul_f32_e32 v18, v40, v23
	v_mul_f32_e32 v39, v11, v27
	;; [unrolled: 1-line block ×3, first 2 shown]
	v_fmac_f32_e32 v9, v11, v26
	v_add_f32_e32 v102, v83, v46
	v_fmac_f32_e32 v18, v1, v22
	v_fma_f32 v41, v41, v16, -v97
	v_mul_f32_e32 v16, v1, v23
	v_fma_f32 v23, v42, v20, -v114
	v_dual_mul_f32 v20, v10, v29 :: v_dual_mul_f32 v29, v44, v31
	v_mul_f32_e32 v1, v93, v31
	s_delay_alu instid0(VALU_DEP_4) | instskip(SKIP_1) | instid1(VALU_DEP_4)
	v_fma_f32 v16, v40, v22, -v16
	v_add_f32_e32 v40, v50, v48
	v_fma_f32 v11, v37, v28, -v20
	v_add_f32_e32 v42, v6, v51
	v_fmac_f32_e32 v27, v10, v28
	v_dual_fmac_f32 v1, v44, v30 :: v_dual_add_f32 v114, v46, v43
	v_add_f32_e32 v28, v86, v49
	v_fma_f32 v13, v38, v26, -v39
	v_add_f32_e32 v38, v115, v116
	v_fma_f32 v21, v96, v24, -v21
	v_sub_f32_e32 v44, v50, v48
	v_fma_f32 v10, v93, v30, -v29
	v_dual_add_f32 v30, v100, v115 :: v_dual_add_f32 v39, v85, v50
	v_add_f32_e32 v50, v51, v3
	v_add_f32_e32 v24, v101, v25
	v_add_f32_e32 v20, v81, v21
	s_delay_alu instid0(VALU_DEP_4)
	v_add_f32_e32 v30, v30, v116
	v_add_f32_e32 v22, v21, v13
	v_dual_add_f32 v29, v49, v47 :: v_dual_add_f32 v118, v82, v41
	v_dual_sub_f32 v37, v115, v116 :: v_dual_add_f32 v96, v4, v2
	v_sub_f32_e32 v97, v2, v15
	v_add_f32_e32 v2, v2, v15
	v_sub_f32_e32 v26, v25, v9
	v_dual_add_f32 v25, v25, v9 :: v_dual_add_f32 v28, v28, v47
	s_delay_alu instid0(VALU_DEP_3)
	v_dual_add_f32 v9, v24, v9 :: v_dual_fmac_f32 v4, -0.5, v2
	v_dual_sub_f32 v24, v17, v19 :: v_dual_add_f32 v115, v52, v5
	v_sub_f32_e32 v117, v5, v7
	v_dual_add_f32 v5, v5, v7 :: v_dual_fmac_f32 v6, -0.5, v50
	v_dual_sub_f32 v21, v21, v13 :: v_dual_sub_f32 v46, v46, v43
	v_sub_f32_e32 v31, v49, v47
	v_sub_f32_e32 v49, v51, v3
	v_dual_add_f32 v51, v84, v45 :: v_dual_fmac_f32 v100, -0.5, v38
	v_dual_add_f32 v93, v45, v12 :: v_dual_sub_f32 v116, v0, v18
	v_sub_f32_e32 v45, v45, v12
	s_delay_alu instid0(VALU_DEP_3)
	v_dual_add_f32 v13, v20, v13 :: v_dual_add_f32 v12, v51, v12
	v_dual_add_f32 v20, v41, v8 :: v_dual_fmac_f32 v81, -0.5, v22
	v_add_f32_e32 v38, v80, v11
	v_dual_add_f32 v22, v98, v17 :: v_dual_add_f32 v17, v17, v19
	v_dual_fmac_f32 v52, -0.5, v5 :: v_dual_add_f32 v47, v23, v16
	v_dual_fmac_f32 v86, -0.5, v29 :: v_dual_add_f32 v29, v99, v0
	s_delay_alu instid0(VALU_DEP_3)
	v_fmac_f32_e32 v98, -0.5, v17
	v_dual_add_f32 v0, v0, v18 :: v_dual_add_f32 v3, v42, v3
	v_add_f32_e32 v42, v27, v1
	v_add_f32_e32 v39, v39, v48
	v_dual_add_f32 v48, v11, v10 :: v_dual_fmac_f32 v101, -0.5, v25
	v_add_f32_e32 v2, v102, v43
	v_dual_add_f32 v25, v53, v23 :: v_dual_fmac_f32 v82, -0.5, v20
	v_dual_sub_f32 v41, v41, v8 :: v_dual_fmac_f32 v84, -0.5, v93
	v_sub_f32_e32 v23, v23, v16
	v_dual_fmac_f32 v85, -0.5, v40 :: v_dual_add_f32 v40, v14, v27
	v_sub_f32_e32 v27, v27, v1
	v_dual_fmac_f32 v83, -0.5, v114 :: v_dual_fmamk_f32 v20, v31, 0xbf5db3d7, v100
	v_dual_add_f32 v5, v118, v8 :: v_dual_fmac_f32 v100, 0x3f5db3d7, v31
	v_add_f32_e32 v8, v22, v19
	v_fmac_f32_e32 v53, -0.5, v47
	v_fmac_f32_e32 v99, -0.5, v0
	v_dual_fmac_f32 v80, -0.5, v48 :: v_dual_sub_f32 v11, v11, v10
	v_dual_add_f32 v16, v25, v16 :: v_dual_add_f32 v15, v96, v15
	v_add_f32_e32 v17, v29, v18
	v_add_f32_e32 v0, v38, v10
	v_fmac_f32_e32 v14, -0.5, v42
	v_fmamk_f32 v10, v26, 0x3f5db3d7, v81
	v_fmamk_f32 v18, v21, 0xbf5db3d7, v101
	v_fmac_f32_e32 v81, 0xbf5db3d7, v26
	v_fmac_f32_e32 v101, 0x3f5db3d7, v21
	v_dual_add_f32 v7, v115, v7 :: v_dual_fmamk_f32 v22, v44, 0xbf5db3d7, v6
	v_fmac_f32_e32 v6, 0x3f5db3d7, v44
	v_dual_fmamk_f32 v19, v37, 0x3f5db3d7, v86 :: v_dual_fmamk_f32 v38, v116, 0x3f5db3d7, v53
	v_fmac_f32_e32 v86, 0xbf5db3d7, v37
	v_fmamk_f32 v21, v49, 0x3f5db3d7, v85
	v_fmac_f32_e32 v85, 0xbf5db3d7, v49
	v_fmamk_f32 v25, v97, 0x3f5db3d7, v84
	;; [unrolled: 2-line block ×3, first 2 shown]
	v_dual_fmac_f32 v4, 0x3f5db3d7, v45 :: v_dual_fmamk_f32 v29, v117, 0x3f5db3d7, v83
	v_fmac_f32_e32 v83, 0xbf5db3d7, v117
	v_dual_fmamk_f32 v31, v46, 0xbf5db3d7, v52 :: v_dual_fmamk_f32 v102, v23, 0xbf5db3d7, v99
	v_fmamk_f32 v37, v24, 0x3f5db3d7, v82
	v_fmac_f32_e32 v82, 0xbf5db3d7, v24
	v_fmac_f32_e32 v99, 0x3f5db3d7, v23
	v_fmamk_f32 v23, v27, 0x3f5db3d7, v80
	v_fmac_f32_e32 v80, 0xbf5db3d7, v27
	s_barrier_wait -1
	global_inv scope:SCOPE_SE
	v_dual_add_f32 v1, v40, v1 :: v_dual_fmac_f32 v52, 0x3f5db3d7, v46
	v_fmamk_f32 v24, v41, 0xbf5db3d7, v98
	v_fmac_f32_e32 v98, 0x3f5db3d7, v41
	v_fmac_f32_e32 v53, 0xbf5db3d7, v116
	v_fmamk_f32 v27, v11, 0xbf5db3d7, v14
	v_fmac_f32_e32 v14, 0x3f5db3d7, v11
	ds_store_2addr_b32 v104, v13, v10 offset1:8
	ds_store_b32 v104, v81 offset:64
	ds_store_2addr_b32 v105, v28, v19 offset1:8
	ds_store_b32 v105, v86 offset:64
	;; [unrolled: 2-line block ×8, first 2 shown]
	global_wb scope:SCOPE_SE
	s_wait_dscnt 0x0
	s_barrier_signal -1
	s_barrier_wait -1
	global_inv scope:SCOPE_SE
	ds_load_b32 v82, v54
	ds_load_2addr_b32 v[38:39], v61 offset0:177 offset1:240
	ds_load_2addr_b32 v[50:51], v78 offset0:55 offset1:118
	;; [unrolled: 1-line block ×7, first 2 shown]
	ds_load_b32 v85, v72
	ds_load_b32 v84, v73
	;; [unrolled: 1-line block ×8, first 2 shown]
	ds_load_b32 v96, v54 offset:5796
	global_wb scope:SCOPE_SE
	s_wait_dscnt 0x0
	s_barrier_signal -1
	s_barrier_wait -1
	global_inv scope:SCOPE_SE
	ds_store_2addr_b32 v104, v9, v18 offset1:8
	ds_store_b32 v104, v101 offset:64
	ds_store_2addr_b32 v105, v30, v20 offset1:8
	ds_store_b32 v105, v100 offset:64
	ds_store_2addr_b32 v106, v3, v22 offset1:8
	ds_store_b32 v106, v6 offset:64
	ds_store_2addr_b32 v108, v15, v26 offset1:8
	ds_store_b32 v108, v4 offset:64
	ds_store_2addr_b32 v109, v7, v31 offset1:8
	ds_store_b32 v109, v52 offset:64
	ds_store_2addr_b32 v103, v8, v24 offset1:8
	ds_store_b32 v103, v98 offset:64
	ds_store_2addr_b32 v110, v17, v102 offset1:8
	ds_store_b32 v110, v99 offset:64
	ds_store_2addr_b32 v111, v1, v27 offset1:8
	ds_store_b32 v111, v14 offset:64
	global_wb scope:SCOPE_SE
	s_wait_dscnt 0x0
	s_barrier_signal -1
	s_barrier_wait -1
	global_inv scope:SCOPE_SE
	s_clause 0x1
	global_load_b128 v[4:7], v112, s[4:5] offset:176
	global_load_b128 v[0:3], v113, s[4:5] offset:176
	v_and_b32_e32 v101, 0xffff, v66
	v_and_b32_e32 v102, 0xffff, v67
	;; [unrolled: 1-line block ×3, first 2 shown]
	v_sub_nc_u16 v9, v57, v107
	v_and_b32_e32 v111, 0xffff, v68
	v_mul_u32_u24_e32 v12, 0xaaab, v101
	v_mul_u32_u24_e32 v16, 0xaaab, v102
	v_mul_lo_u16 v17, 0xab, v17
	v_add_nc_u32_e32 v52, -9, v56
	v_dual_mov_b32 v37, 0 :: v_dual_and_b32 v98, 0xff, v9
	v_lshrrev_b32_e32 v103, 20, v12
	v_lshrrev_b32_e32 v107, 20, v16
	v_lshrrev_b16 v110, 12, v17
	v_mul_u32_u24_e32 v17, 0xaaab, v111
	s_wait_alu 0xf1ff
	v_cndmask_b32_e64 v100, v52, v58, s0
	v_mul_lo_u16 v16, v103, 24
	v_mul_lo_u16 v18, v107, 24
	;; [unrolled: 1-line block ×3, first 2 shown]
	v_lshrrev_b32_e32 v109, 20, v17
	v_lshlrev_b64_e32 v[52:53], 3, v[36:37]
	v_sub_nc_u16 v16, v66, v16
	v_sub_nc_u16 v18, v67, v18
	v_lshlrev_b32_e32 v36, 1, v100
	v_sub_nc_u16 v8, v71, v8
	v_mul_u32_u24_e32 v92, 0x120, v92
	v_and_b32_e32 v104, 0xffff, v16
	v_mul_lo_u16 v16, v110, 24
	v_and_b32_e32 v105, 0xffff, v18
	v_mul_lo_u16 v18, v109, 24
	v_lshlrev_b64_e32 v[36:37], 3, v[36:37]
	v_lshlrev_b32_e32 v17, 4, v104
	v_sub_nc_u16 v16, v56, v16
	v_lshlrev_b32_e32 v19, 4, v105
	v_mul_u32_u24_e32 v109, 0x120, v109
	v_mul_u32_u24_e32 v107, 0x120, v107
	global_load_b128 v[28:31], v17, s[4:5] offset:176
	v_and_b32_e32 v108, 0xff, v16
	v_sub_nc_u16 v16, v68, v18
	global_load_b128 v[20:23], v19, s[4:5] offset:176
	v_and_b32_e32 v87, 0xffff, v87
	v_mul_lo_u16 v114, 0x48, v95
	v_lshlrev_b32_e32 v17, 4, v108
	v_and_b32_e32 v106, 0xffff, v16
	s_delay_alu instid0(VALU_DEP_4) | instskip(SKIP_1) | instid1(VALU_DEP_3)
	v_mul_u32_u24_e32 v116, 0x120, v87
	v_add_co_u32 v87, s0, s4, v36
	v_lshlrev_b32_e32 v16, 4, v106
	global_load_b128 v[24:27], v17, s[4:5] offset:176
	v_and_b32_e32 v90, 0xffff, v90
	v_and_b32_e32 v99, 0xffff, v8
	v_lshlrev_b32_e32 v8, 4, v98
	global_load_b128 v[16:19], v16, s[4:5] offset:176
	v_mul_u32_u24_e32 v112, 0xe38f, v102
	v_and_b32_e32 v102, 0xffff, v110
	v_mul_u32_u24_e32 v110, 0x120, v103
	v_mul_lo_u16 v103, 0x48, v79
	v_mul_lo_u16 v113, 0x48, v94
	v_mul_u32_u24_e32 v118, 0x120, v90
	global_load_b128 v[8:11], v8, s[4:5] offset:176
	v_mul_u32_u24_e32 v115, 0x120, v102
	v_sub_nc_u16 v90, v59, v103
	v_sub_nc_u16 v102, v57, v113
	v_lshlrev_b32_e32 v113, 2, v91
	v_lshlrev_b32_e32 v89, 2, v89
	;; [unrolled: 1-line block ×3, first 2 shown]
	v_and_b32_e32 v36, 0xff, v90
	ds_load_2addr_b32 v[90:91], v64 offset0:47 offset1:110
	v_and_b32_e32 v88, 0xffff, v88
	v_add3_u32 v113, 0, v116, v113
	v_sub_nc_u16 v71, v71, v114
	s_delay_alu instid0(VALU_DEP_3)
	v_mul_u32_u24_e32 v117, 0x120, v88
	s_wait_alu 0xf1ff
	v_add_co_ci_u32_e64 v88, s0, s5, v37, s0
	v_and_b32_e32 v37, 0xff, v102
	ds_load_2addr_b32 v[102:103], v78 offset0:55 offset1:118
	v_add3_u32 v89, 0, v117, v89
	s_wait_loadcnt 0x6
	v_dual_mul_f32 v117, v48, v7 :: v_dual_lshlrev_b32 v106, 2, v106
	v_mul_f32_e32 v116, v50, v5
	v_mul_u32_u24_e32 v101, 0xe38f, v101
	s_wait_dscnt 0x1
	s_delay_alu instid0(VALU_DEP_3)
	v_fmac_f32_e32 v117, v90, v6
	v_add3_u32 v106, 0, v109, v106
	s_wait_dscnt 0x0
	v_mul_f32_e32 v109, v102, v5
	s_wait_loadcnt 0x5
	v_dual_mul_f32 v5, v90, v7 :: v_dual_mul_f32 v90, v51, v1
	v_dual_fmac_f32 v116, v102, v4 :: v_dual_lshlrev_b32 v13, 4, v99
	v_lshlrev_b32_e32 v108, 2, v108
	v_lshlrev_b32_e32 v99, 2, v99
	v_mul_f32_e32 v7, v103, v1
	global_load_b128 v[12:15], v13, s[4:5] offset:176
	v_mul_f32_e32 v1, v91, v3
	v_dual_fmac_f32 v90, v103, v0 :: v_dual_lshlrev_b32 v105, 2, v105
	v_dual_mul_f32 v3, v49, v3 :: v_dual_lshlrev_b32 v104, 2, v104
	v_add3_u32 v108, 0, v115, v108
	v_add3_u32 v115, 0, v118, v98
	;; [unrolled: 1-line block ×3, first 2 shown]
	s_delay_alu instid0(VALU_DEP_4)
	v_fmac_f32_e32 v3, v91, v2
	v_add3_u32 v110, 0, v110, v104
	v_add3_u32 v107, 0, v107, v105
	ds_load_2addr_b32 v[98:99], v78 offset0:181 offset1:244
	ds_load_2addr_b32 v[104:105], v64 offset0:173 offset1:236
	v_fma_f32 v48, v48, v6, -v5
	v_fma_f32 v51, v51, v0, -v7
	ds_load_2addr_b32 v[6:7], v65 offset0:43 offset1:106
	v_fma_f32 v50, v50, v4, -v109
	ds_load_2addr_b32 v[4:5], v61 offset0:51 offset1:114
	v_fma_f32 v49, v49, v2, -v1
	ds_load_b32 v102, v77
	ds_load_b32 v103, v76
	v_lshrrev_b32_e32 v101, 22, v101
	s_wait_loadcnt_dscnt 0x402
	v_mul_f32_e32 v109, v5, v21
	s_wait_loadcnt 0x1
	v_mul_f32_e32 v0, v98, v9
	v_dual_mul_f32 v2, v46, v9 :: v_dual_mul_f32 v1, v104, v11
	v_dual_mul_f32 v9, v44, v11 :: v_dual_lshlrev_b32 v114, 4, v36
	s_delay_alu instid0(VALU_DEP_3) | instskip(NEXT) | instid1(VALU_DEP_3)
	v_fma_f32 v46, v46, v8, -v0
	v_fmac_f32_e32 v2, v98, v8
	s_delay_alu instid0(VALU_DEP_4)
	v_fma_f32 v8, v44, v10, -v1
	ds_load_2addr_b32 v[0:1], v61 offset0:177 offset1:240
	v_lshlrev_b32_e32 v36, 2, v36
	v_mul_u32_u24_e32 v111, 0xe38f, v111
	s_wait_loadcnt 0x0
	v_mul_f32_e32 v11, v99, v13
	v_mul_f32_e32 v13, v47, v13
	s_delay_alu instid0(VALU_DEP_2) | instskip(SKIP_2) | instid1(VALU_DEP_4)
	v_fma_f32 v11, v47, v12, -v11
	v_mul_f32_e32 v47, v6, v31
	v_mul_f32_e32 v31, v40, v31
	v_fmac_f32_e32 v13, v99, v12
	ds_load_b32 v44, v72
	ds_load_b32 v91, v73
	;; [unrolled: 1-line block ×4, first 2 shown]
	v_dual_fmac_f32 v31, v6, v30 :: v_dual_mul_f32 v6, v43, v21
	s_delay_alu instid0(VALU_DEP_1) | instskip(SKIP_1) | instid1(VALU_DEP_2)
	v_dual_mul_f32 v21, v7, v23 :: v_dual_fmac_f32 v6, v5, v20
	v_mul_f32_e32 v5, v39, v27
	v_fma_f32 v21, v41, v22, -v21
	v_mul_f32_e32 v23, v41, v23
	s_delay_alu instid0(VALU_DEP_1)
	v_fmac_f32_e32 v23, v7, v22
	s_wait_dscnt 0x4
	v_fmac_f32_e32 v5, v1, v26
	v_dual_fmac_f32 v9, v104, v10 :: v_dual_mul_f32 v10, v105, v15
	v_mul_f32_e32 v15, v45, v15
	v_mul_f32_e32 v7, v96, v19
	s_delay_alu instid0(VALU_DEP_3)
	v_fma_f32 v10, v45, v14, -v10
	ds_load_b32 v45, v62
	ds_load_b32 v104, v60
	v_fmac_f32_e32 v15, v105, v14
	ds_load_b32 v12, v54 offset:5796
	ds_load_b32 v105, v54
	v_mul_f32_e32 v14, v4, v29
	v_mul_f32_e32 v29, v42, v29
	global_wb scope:SCOPE_SE
	s_wait_dscnt 0x0
	s_barrier_signal -1
	s_barrier_wait -1
	v_fma_f32 v14, v42, v28, -v14
	v_fmac_f32_e32 v29, v4, v28
	v_fma_f32 v4, v40, v30, -v47
	v_mul_f32_e32 v28, v102, v25
	v_mul_f32_e32 v40, v1, v27
	v_add_f32_e32 v42, v84, v11
	global_inv scope:SCOPE_SE
	v_fma_f32 v22, v39, v26, -v40
	v_dual_add_f32 v39, v46, v8 :: v_dual_add_f32 v40, v85, v46
	v_dual_sub_f32 v46, v46, v8 :: v_dual_mul_f32 v27, v12, v19
	v_fma_f32 v19, v97, v24, -v28
	v_add_f32_e32 v28, v86, v51
	v_fma_f32 v30, v43, v20, -v109
	v_mul_f32_e32 v20, v0, v17
	v_mul_f32_e32 v17, v38, v17
	v_mul_f32_e32 v25, v97, v25
	v_fmac_f32_e32 v7, v12, v18
	v_add_f32_e32 v12, v19, v22
	v_fma_f32 v1, v38, v16, -v20
	v_dual_fmac_f32 v17, v0, v16 :: v_dual_add_f32 v16, v82, v19
	v_dual_add_f32 v20, v50, v48 :: v_dual_sub_f32 v19, v19, v22
	v_dual_add_f32 v41, v11, v10 :: v_dual_add_f32 v28, v28, v49
	v_add_f32_e32 v118, v30, v21
	v_fmac_f32_e32 v82, -0.5, v12
	v_add_f32_e32 v12, v80, v30
	v_add_f32_e32 v16, v16, v22
	;; [unrolled: 1-line block ×3, first 2 shown]
	v_fma_f32 v0, v96, v18, -v27
	v_add_f32_e32 v27, v51, v49
	v_sub_f32_e32 v30, v30, v21
	v_dual_fmac_f32 v25, v102, v24 :: v_dual_add_f32 v24, v93, v50
	v_sub_f32_e32 v26, v116, v117
	v_dual_sub_f32 v38, v90, v3 :: v_dual_add_f32 v97, v83, v14
	v_fmac_f32_e32 v84, -0.5, v41
	v_add_f32_e32 v102, v14, v4
	v_sub_f32_e32 v50, v50, v48
	v_dual_fmac_f32 v93, -0.5, v20 :: v_dual_sub_f32 v20, v6, v23
	v_dual_add_f32 v24, v24, v48 :: v_dual_sub_f32 v51, v51, v49
	v_fmac_f32_e32 v80, -0.5, v118
	v_sub_f32_e32 v14, v14, v4
	v_sub_f32_e32 v48, v17, v7
	;; [unrolled: 1-line block ×3, first 2 shown]
	v_dual_sub_f32 v43, v2, v9 :: v_dual_add_f32 v8, v40, v8
	v_sub_f32_e32 v47, v13, v15
	v_add_f32_e32 v96, v105, v25
	v_dual_add_f32 v49, v45, v90 :: v_dual_add_f32 v90, v90, v3
	v_fmac_f32_e32 v86, -0.5, v27
	v_dual_fmac_f32 v85, -0.5, v39 :: v_dual_add_f32 v4, v97, v4
	v_dual_add_f32 v39, v44, v2 :: v_dual_add_f32 v2, v2, v9
	v_add_f32_e32 v25, v25, v5
	v_add_f32_e32 v119, v1, v0
	v_dual_sub_f32 v109, v29, v31 :: v_dual_add_f32 v40, v98, v29
	v_dual_sub_f32 v11, v11, v10 :: v_dual_add_f32 v96, v96, v5
	v_dual_add_f32 v27, v104, v116 :: v_dual_fmac_f32 v44, -0.5, v2
	v_add_f32_e32 v116, v116, v117
	v_dual_add_f32 v41, v91, v13 :: v_dual_fmamk_f32 v2, v18, 0x3f5db3d7, v82
	v_dual_add_f32 v29, v29, v31 :: v_dual_fmac_f32 v82, 0xbf5db3d7, v18
	v_add_f32_e32 v10, v42, v10
	v_add_f32_e32 v42, v99, v6
	v_dual_add_f32 v6, v6, v23 :: v_dual_add_f32 v5, v103, v17
	v_add_f32_e32 v17, v17, v7
	v_dual_add_f32 v13, v13, v15 :: v_dual_fmac_f32 v98, -0.5, v29
	v_fmac_f32_e32 v105, -0.5, v25
	v_fmac_f32_e32 v83, -0.5, v102
	;; [unrolled: 1-line block ×3, first 2 shown]
	v_dual_sub_f32 v1, v1, v0 :: v_dual_add_f32 v12, v12, v21
	v_add_f32_e32 v0, v22, v0
	v_fmac_f32_e32 v104, -0.5, v116
	v_dual_add_f32 v22, v41, v15 :: v_dual_fmac_f32 v99, -0.5, v6
	v_dual_fmamk_f32 v6, v38, 0x3f5db3d7, v86 :: v_dual_fmac_f32 v103, -0.5, v17
	v_fmamk_f32 v17, v20, 0x3f5db3d7, v80
	v_dual_fmac_f32 v80, 0xbf5db3d7, v20 :: v_dual_add_f32 v21, v27, v117
	v_dual_fmamk_f32 v18, v48, 0x3f5db3d7, v81 :: v_dual_add_f32 v27, v5, v7
	v_fmamk_f32 v5, v26, 0x3f5db3d7, v93
	v_fmac_f32_e32 v93, 0xbf5db3d7, v26
	v_fmac_f32_e32 v45, -0.5, v90
	v_dual_fmac_f32 v91, -0.5, v13 :: v_dual_fmac_f32 v86, 0xbf5db3d7, v38
	v_dual_add_f32 v3, v49, v3 :: v_dual_fmamk_f32 v20, v19, 0xbf5db3d7, v105
	v_fmamk_f32 v7, v43, 0x3f5db3d7, v85
	v_fmac_f32_e32 v85, 0xbf5db3d7, v43
	v_fmamk_f32 v13, v47, 0x3f5db3d7, v84
	v_fmac_f32_e32 v84, 0xbf5db3d7, v47
	;; [unrolled: 2-line block ×3, first 2 shown]
	v_fmac_f32_e32 v81, 0xbf5db3d7, v48
	ds_store_2addr_b32 v108, v16, v2 offset1:24
	ds_store_b32 v108, v82 offset:192
	ds_store_2addr_b32 v113, v24, v5 offset1:24
	ds_store_b32 v113, v93 offset:192
	;; [unrolled: 2-line block ×8, first 2 shown]
	v_and_b32_e32 v10, 0xffff, v71
	v_fmac_f32_e32 v105, 0x3f5db3d7, v19
	v_fmamk_f32 v19, v50, 0xbf5db3d7, v104
	v_dual_add_f32 v9, v39, v9 :: v_dual_fmac_f32 v104, 0x3f5db3d7, v50
	v_dual_add_f32 v25, v40, v31 :: v_dual_fmamk_f32 v26, v51, 0xbf5db3d7, v45
	v_dual_fmamk_f32 v39, v30, 0xbf5db3d7, v99 :: v_dual_lshlrev_b32 v8, 4, v37
	v_fmac_f32_e32 v99, 0x3f5db3d7, v30
	v_fmamk_f32 v30, v1, 0xbf5db3d7, v103
	v_fmac_f32_e32 v45, 0x3f5db3d7, v51
	v_fmamk_f32 v31, v46, 0xbf5db3d7, v44
	v_dual_fmac_f32 v44, 0x3f5db3d7, v46 :: v_dual_add_f32 v23, v42, v23
	v_fmamk_f32 v38, v11, 0xbf5db3d7, v91
	v_fmac_f32_e32 v91, 0x3f5db3d7, v11
	v_fmamk_f32 v11, v14, 0xbf5db3d7, v98
	v_dual_fmac_f32 v98, 0x3f5db3d7, v14 :: v_dual_fmac_f32 v103, 0x3f5db3d7, v1
	global_wb scope:SCOPE_SE
	s_wait_dscnt 0x0
	s_barrier_signal -1
	s_barrier_wait -1
	global_inv scope:SCOPE_SE
	ds_load_b32 v13, v54
	ds_load_2addr_b32 v[4:5], v61 offset0:177 offset1:240
	ds_load_b32 v12, v72
	ds_load_b32 v7, v73
	;; [unrolled: 1-line block ×6, first 2 shown]
	ds_load_b32 v0, v54 offset:5796
	ds_load_2addr_b32 v[28:29], v78 offset0:55 offset1:118
	ds_load_2addr_b32 v[46:47], v64 offset0:47 offset1:110
	;; [unrolled: 1-line block ×6, first 2 shown]
	ds_load_b32 v86, v77
	ds_load_b32 v1, v76
	global_wb scope:SCOPE_SE
	s_wait_dscnt 0x0
	s_barrier_signal -1
	s_barrier_wait -1
	global_inv scope:SCOPE_SE
	ds_store_2addr_b32 v108, v96, v20 offset1:24
	ds_store_b32 v108, v105 offset:192
	ds_store_2addr_b32 v113, v21, v19 offset1:24
	ds_store_b32 v113, v104 offset:192
	;; [unrolled: 2-line block ×8, first 2 shown]
	v_lshlrev_b32_e32 v30, 4, v10
	v_mul_lo_u16 v9, 0x48, v101
	global_wb scope:SCOPE_SE
	s_wait_dscnt 0x0
	s_barrier_signal -1
	s_barrier_wait -1
	global_inv scope:SCOPE_SE
	s_clause 0x1
	global_load_b128 v[24:27], v8, s[4:5] offset:560
	global_load_b128 v[96:99], v30, s[4:5] offset:560
	v_add_co_u32 v8, s0, s4, v52
	v_lshrrev_b32_e32 v3, 22, v112
	v_sub_nc_u16 v38, v66, v9
	s_wait_alu 0xf1ff
	v_add_co_ci_u32_e64 v9, s0, s5, v53, s0
	global_load_b128 v[16:19], v[87:88], off offset:560
	v_mul_lo_u16 v11, 0x48, v3
	v_and_b32_e32 v30, 0xffff, v38
	s_clause 0x1
	global_load_b128 v[20:23], v114, s[4:5] offset:560
	global_load_b128 v[102:105], v[8:9], off offset:560
	v_lshrrev_b32_e32 v31, 22, v111
	v_sub_nc_u16 v11, v67, v11
	v_lshlrev_b32_e32 v8, 4, v30
	v_cmp_lt_u32_e64 s0, 8, v56
	v_mul_u32_u24_e32 v40, 0x360, v95
	v_mul_lo_u16 v31, 0x48, v31
	v_mul_u32_u24_e32 v41, 0x360, v101
	global_load_b128 v[106:109], v8, s[4:5] offset:560
	v_and_b32_e32 v11, 0xffff, v11
	v_mul_u32_u24_e32 v3, 0x360, v3
	v_sub_nc_u16 v9, v68, v31
	v_lshlrev_b32_e32 v42, 2, v37
	v_lshlrev_b32_e32 v30, 2, v30
	v_lshlrev_b32_e32 v31, 4, v11
	s_delay_alu instid0(VALU_DEP_4)
	v_and_b32_e32 v38, 0xffff, v9
	s_wait_alu 0xf1ff
	v_cndmask_b32_e64 v9, 0, 0x360, s0
	v_add3_u32 v30, 0, v41, v30
	global_load_b128 v[110:113], v31, s[4:5] offset:560
	v_lshlrev_b32_e32 v31, 2, v100
	v_lshlrev_b32_e32 v8, 4, v38
	v_and_b32_e32 v39, 0xffff, v94
	v_cmp_gt_u32_e64 s0, 27, v56
	s_delay_alu instid0(VALU_DEP_4) | instskip(SKIP_4) | instid1(VALU_DEP_3)
	v_add3_u32 v9, 0, v9, v31
	global_load_b128 v[114:117], v8, s[4:5] offset:560
	v_and_b32_e32 v31, 0xffff, v79
	v_mul_u32_u24_e32 v39, 0x360, v39
	v_lshlrev_b32_e32 v43, 2, v10
	v_mul_u32_u24_e32 v31, 0x360, v31
	s_delay_alu instid0(VALU_DEP_1) | instskip(NEXT) | instid1(VALU_DEP_4)
	v_add3_u32 v37, 0, v31, v36
	v_add3_u32 v36, 0, v39, v42
	s_delay_alu instid0(VALU_DEP_4)
	v_add3_u32 v31, 0, v40, v43
	s_wait_loadcnt 0x5
	v_mul_f32_e32 v85, v46, v19
	v_lshl_add_u32 v10, v38, 2, 0
	v_mul_f32_e32 v88, v28, v17
	s_wait_loadcnt 0x3
	v_dual_mul_f32 v81, v29, v21 :: v_dual_mul_f32 v94, v86, v103
	v_lshlrev_b32_e32 v11, 2, v11
	v_add_nc_u32_e32 v38, 0x1400, v10
	s_delay_alu instid0(VALU_DEP_2)
	v_add3_u32 v11, 0, v3, v11
	ds_load_2addr_b32 v[48:49], v78 offset0:55 offset1:118
	ds_load_2addr_b32 v[50:51], v64 offset0:47 offset1:110
	;; [unrolled: 1-line block ×5, first 2 shown]
	ds_load_b32 v39, v54
	ds_load_2addr_b32 v[126:127], v61 offset0:51 offset1:114
	ds_load_2addr_b32 v[128:129], v65 offset0:43 offset1:106
	ds_load_b32 v68, v77
	ds_load_b32 v3, v76
	;; [unrolled: 1-line block ×8, first 2 shown]
	ds_load_b32 v71, v54 offset:5796
	v_add_nc_u32_e32 v8, 0x400, v54
	v_mul_f32_e32 v76, v47, v23
	global_wb scope:SCOPE_SE
	s_wait_loadcnt_dscnt 0x0
	v_dual_mul_f32 v52, v48, v17 :: v_dual_mul_f32 v17, v50, v19
	v_dual_mul_f32 v19, v49, v21 :: v_dual_fmac_f32 v88, v48, v16
	v_fmac_f32_e32 v76, v51, v22
	s_delay_alu instid0(VALU_DEP_3) | instskip(SKIP_4) | instid1(VALU_DEP_4)
	v_fma_f32 v91, v28, v16, -v52
	v_mul_f32_e32 v52, v120, v107
	v_mul_f32_e32 v21, v51, v23
	v_fma_f32 v92, v46, v18, -v17
	v_mul_f32_e32 v46, v123, v113
	v_dual_mul_f32 v17, v67, v97 :: v_dual_fmac_f32 v52, v126, v106
	s_delay_alu instid0(VALU_DEP_4) | instskip(SKIP_1) | instid1(VALU_DEP_4)
	v_fma_f32 v87, v47, v22, -v21
	v_mul_f32_e32 v47, v121, v111
	v_dual_fmac_f32 v46, v129, v112 :: v_dual_mul_f32 v53, v84, v97
	v_fma_f32 v82, v29, v20, -v19
	v_fma_f32 v80, v84, v96, -v17
	s_delay_alu instid0(VALU_DEP_4) | instskip(SKIP_3) | instid1(VALU_DEP_4)
	v_fmac_f32_e32 v47, v127, v110
	v_mul_f32_e32 v21, v126, v107
	v_dual_mul_f32 v16, v100, v27 :: v_dual_mul_f32 v17, v71, v117
	v_mul_f32_e32 v48, v0, v117
	v_sub_f32_e32 v72, v47, v46
	s_delay_alu instid0(VALU_DEP_4)
	v_fma_f32 v84, v120, v106, -v21
	v_mul_f32_e32 v19, v68, v103
	v_fma_f32 v90, v118, v26, -v16
	v_mul_f32_e32 v16, v129, v113
	v_fma_f32 v75, v0, v116, -v17
	v_add_f32_e32 v28, v6, v84
	v_fma_f32 v95, v86, v102, -v19
	v_mul_f32_e32 v23, v66, v25
	v_mul_f32_e32 v77, v83, v25
	;; [unrolled: 1-line block ×3, first 2 shown]
	v_fma_f32 v74, v123, v112, -v16
	v_add_f32_e32 v0, v13, v95
	v_fma_f32 v89, v83, v24, -v23
	v_fmac_f32_e32 v81, v49, v20
	v_mul_f32_e32 v20, v125, v105
	v_add_f32_e32 v16, v15, v91
	v_fmac_f32_e32 v53, v67, v96
	v_fma_f32 v86, v122, v108, -v22
	v_add_f32_e32 v19, v14, v82
	v_fma_f32 v96, v5, v104, -v20
	v_add_f32_e32 v20, v82, v87
	v_dual_mul_f32 v25, v127, v111 :: v_dual_add_f32 v22, v12, v89
	v_sub_f32_e32 v21, v81, v76
	s_delay_alu instid0(VALU_DEP_3)
	v_dual_fmac_f32 v85, v50, v18 :: v_dual_fmac_f32 v14, -0.5, v20
	v_mul_f32_e32 v23, v124, v115
	v_mul_f32_e32 v18, v101, v99
	;; [unrolled: 1-line block ×3, first 2 shown]
	v_fma_f32 v67, v121, v110, -v25
	v_mul_f32_e32 v49, v4, v115
	v_fma_f32 v73, v4, v114, -v23
	v_mul_f32_e32 v51, v122, v109
	v_fma_f32 v83, v119, v98, -v18
	v_fmac_f32_e32 v50, v101, v98
	v_mul_f32_e32 v93, v5, v105
	v_add_f32_e32 v98, v73, v75
	v_fmac_f32_e32 v48, v71, v116
	v_dual_add_f32 v4, v95, v96 :: v_dual_mul_f32 v79, v118, v27
	v_dual_sub_f32 v18, v88, v85 :: v_dual_add_f32 v71, v67, v74
	v_fmac_f32_e32 v51, v128, v108
	v_add_f32_e32 v97, v1, v73
	v_fmac_f32_e32 v1, -0.5, v98
	v_add_f32_e32 v29, v84, v86
	v_fmac_f32_e32 v77, v66, v24
	v_dual_fmac_f32 v79, v100, v26 :: v_dual_add_f32 v66, v2, v67
	v_fmac_f32_e32 v94, v68, v102
	v_dual_add_f32 v26, v80, v83 :: v_dual_fmac_f32 v93, v125, v104
	v_fmac_f32_e32 v6, -0.5, v29
	v_fmac_f32_e32 v2, -0.5, v71
	v_dual_sub_f32 v68, v52, v51 :: v_dual_add_f32 v17, v91, v92
	v_add_f32_e32 v25, v7, v80
	v_fmac_f32_e32 v13, -0.5, v4
	s_delay_alu instid0(VALU_DEP_3) | instskip(NEXT) | instid1(VALU_DEP_4)
	v_dual_fmac_f32 v7, -0.5, v26 :: v_dual_fmamk_f32 v26, v68, 0x3f5db3d7, v6
	v_fmac_f32_e32 v15, -0.5, v17
	v_add_f32_e32 v17, v19, v87
	v_add_f32_e32 v19, v22, v90
	v_dual_add_f32 v22, v28, v86 :: v_dual_sub_f32 v5, v94, v93
	v_dual_add_f32 v16, v16, v92 :: v_dual_add_f32 v23, v89, v90
	v_fmac_f32_e32 v6, 0xbf5db3d7, v68
	v_add_f32_e32 v20, v25, v83
	s_delay_alu instid0(VALU_DEP_4)
	v_fmamk_f32 v25, v5, 0x3f5db3d7, v13
	v_fmac_f32_e32 v13, 0xbf5db3d7, v5
	v_fmamk_f32 v5, v18, 0x3f5db3d7, v15
	v_fmac_f32_e32 v15, 0xbf5db3d7, v18
	v_fmamk_f32 v18, v21, 0x3f5db3d7, v14
	v_dual_fmac_f32 v14, 0xbf5db3d7, v21 :: v_dual_fmac_f32 v49, v124, v114
	v_sub_f32_e32 v24, v77, v79
	v_dual_sub_f32 v27, v53, v50 :: v_dual_fmac_f32 v12, -0.5, v23
	v_dual_add_f32 v4, v0, v96 :: v_dual_add_f32 v23, v66, v74
	v_add_f32_e32 v66, v97, v75
	v_sub_f32_e32 v99, v49, v48
	s_delay_alu instid0(VALU_DEP_4)
	v_fmamk_f32 v21, v24, 0x3f5db3d7, v12
	v_fmac_f32_e32 v12, 0xbf5db3d7, v24
	v_fmamk_f32 v24, v27, 0x3f5db3d7, v7
	v_fmac_f32_e32 v7, 0xbf5db3d7, v27
	;; [unrolled: 2-line block ×3, first 2 shown]
	s_barrier_signal -1
	s_barrier_wait -1
	global_inv scope:SCOPE_SE
	v_fmamk_f32 v0, v99, 0x3f5db3d7, v1
	v_fmac_f32_e32 v1, 0xbf5db3d7, v99
	ds_store_2addr_b32 v54, v4, v25 offset1:72
	ds_store_b32 v54, v13 offset:576
	ds_store_2addr_b32 v9, v16, v5 offset1:72
	ds_store_b32 v9, v15 offset:576
	;; [unrolled: 2-line block ×7, first 2 shown]
	ds_store_2addr_b32 v38, v66, v0 offset0:16 offset1:88
	ds_store_b32 v10, v1 offset:5760
	global_wb scope:SCOPE_SE
	s_wait_dscnt 0x0
	s_barrier_signal -1
	s_barrier_wait -1
	global_inv scope:SCOPE_SE
	ds_load_2addr_b32 v[12:13], v54 offset1:216
	ds_load_2addr_b32 v[14:15], v8 offset0:176 offset1:239
	ds_load_2addr_b32 v[26:27], v78 offset0:46 offset1:136
	;; [unrolled: 1-line block ×8, first 2 shown]
	ds_load_b32 v71, v62
	ds_load_b32 v68, v60
	ds_load_b32 v72, v54 offset:5688
	v_sub_nc_u32_e32 v2, 0, v70
                                        ; implicit-def: $vgpr7
                                        ; implicit-def: $vgpr5
	s_delay_alu instid0(VALU_DEP_1)
	v_add_nc_u32_e32 v69, v69, v2
	s_and_saveexec_b32 s1, s0
	s_cbranch_execz .LBB0_15
; %bb.14:
	v_add_nc_u32_e32 v0, 0x600, v54
	v_add_nc_u32_e32 v2, 0xd00, v54
	;; [unrolled: 1-line block ×3, first 2 shown]
	ds_load_b32 v66, v69
	ds_load_2addr_b32 v[0:1], v0 offset0:21 offset1:237
	ds_load_2addr_b32 v[6:7], v2 offset0:5 offset1:221
	;; [unrolled: 1-line block ×3, first 2 shown]
.LBB0_15:
	s_wait_alu 0xfffe
	s_or_b32 exec_lo, exec_lo, s1
	v_add_f32_e32 v2, v94, v93
	v_add_f32_e32 v70, v39, v94
	v_dual_sub_f32 v94, v95, v96 :: v_dual_add_f32 v95, v88, v85
	global_wb scope:SCOPE_SE
	s_wait_dscnt 0x0
	v_dual_fmac_f32 v39, -0.5, v2 :: v_dual_add_f32 v2, v45, v88
	v_dual_sub_f32 v88, v91, v92 :: v_dual_fmac_f32 v45, -0.5, v95
	s_barrier_signal -1
	s_delay_alu instid0(VALU_DEP_2)
	v_fmamk_f32 v91, v94, 0xbf5db3d7, v39
	v_fmac_f32_e32 v39, 0x3f5db3d7, v94
	v_dual_add_f32 v85, v2, v85 :: v_dual_add_f32 v2, v81, v76
	v_add_f32_e32 v70, v70, v93
	v_fmamk_f32 v92, v88, 0xbf5db3d7, v45
	v_add_f32_e32 v81, v44, v81
	v_dual_fmac_f32 v45, 0x3f5db3d7, v88 :: v_dual_add_f32 v88, v77, v79
	v_fmac_f32_e32 v44, -0.5, v2
	v_sub_f32_e32 v2, v82, v87
	s_delay_alu instid0(VALU_DEP_4) | instskip(NEXT) | instid1(VALU_DEP_4)
	v_dual_add_f32 v76, v81, v76 :: v_dual_add_f32 v77, v43, v77
	v_fmac_f32_e32 v43, -0.5, v88
	s_delay_alu instid0(VALU_DEP_3) | instskip(SKIP_3) | instid1(VALU_DEP_4)
	v_dual_sub_f32 v81, v89, v90 :: v_dual_fmamk_f32 v82, v2, 0xbf5db3d7, v44
	v_fmac_f32_e32 v44, 0x3f5db3d7, v2
	v_add_f32_e32 v2, v53, v50
	v_add_f32_e32 v77, v77, v79
	v_fmamk_f32 v79, v81, 0xbf5db3d7, v43
	v_add_f32_e32 v53, v42, v53
	v_fmac_f32_e32 v43, 0x3f5db3d7, v81
	v_dual_add_f32 v81, v52, v51 :: v_dual_fmac_f32 v42, -0.5, v2
	v_sub_f32_e32 v2, v80, v83
	v_add_f32_e32 v52, v41, v52
	s_delay_alu instid0(VALU_DEP_3) | instskip(NEXT) | instid1(VALU_DEP_3)
	v_dual_add_f32 v50, v53, v50 :: v_dual_fmac_f32 v41, -0.5, v81
	v_dual_sub_f32 v53, v84, v86 :: v_dual_fmamk_f32 v80, v2, 0xbf5db3d7, v42
	v_fmac_f32_e32 v42, 0x3f5db3d7, v2
	v_dual_add_f32 v2, v47, v46 :: v_dual_add_f32 v47, v40, v47
	s_delay_alu instid0(VALU_DEP_3) | instskip(SKIP_2) | instid1(VALU_DEP_4)
	v_dual_add_f32 v51, v52, v51 :: v_dual_fmamk_f32 v52, v53, 0xbf5db3d7, v41
	v_fmac_f32_e32 v41, 0x3f5db3d7, v53
	v_add_f32_e32 v53, v49, v48
	v_dual_add_f32 v49, v3, v49 :: v_dual_fmac_f32 v40, -0.5, v2
	v_sub_f32_e32 v2, v67, v74
	s_barrier_wait -1
	s_delay_alu instid0(VALU_DEP_3) | instskip(SKIP_1) | instid1(VALU_DEP_3)
	v_fmac_f32_e32 v3, -0.5, v53
	v_dual_sub_f32 v53, v73, v75 :: v_dual_add_f32 v46, v47, v46
	v_fmamk_f32 v47, v2, 0xbf5db3d7, v40
	v_dual_fmac_f32 v40, 0x3f5db3d7, v2 :: v_dual_add_f32 v67, v49, v48
	s_delay_alu instid0(VALU_DEP_3)
	v_fmamk_f32 v2, v53, 0xbf5db3d7, v3
	v_fmac_f32_e32 v3, 0x3f5db3d7, v53
	global_inv scope:SCOPE_SE
	ds_store_2addr_b32 v54, v70, v91 offset1:72
	ds_store_b32 v54, v39 offset:576
	ds_store_2addr_b32 v9, v85, v92 offset1:72
	ds_store_b32 v9, v45 offset:576
	;; [unrolled: 2-line block ×7, first 2 shown]
	ds_store_2addr_b32 v38, v67, v2 offset0:16 offset1:88
	ds_store_b32 v10, v3 offset:5760
	global_wb scope:SCOPE_SE
	s_wait_dscnt 0x0
	s_barrier_signal -1
	s_barrier_wait -1
	global_inv scope:SCOPE_SE
	ds_load_2addr_b32 v[36:37], v54 offset1:216
	ds_load_2addr_b32 v[38:39], v8 offset0:176 offset1:239
	ds_load_2addr_b32 v[50:51], v78 offset0:46 offset1:136
	;; [unrolled: 1-line block ×8, first 2 shown]
	ds_load_b32 v61, v62
	ds_load_b32 v55, v60
	ds_load_b32 v60, v54 offset:5688
                                        ; implicit-def: $vgpr9
                                        ; implicit-def: $vgpr11
	s_and_saveexec_b32 s1, s0
	s_cbranch_execz .LBB0_17
; %bb.16:
	v_add_nc_u32_e32 v2, 0x600, v54
	v_add_nc_u32_e32 v8, 0xd00, v54
	;; [unrolled: 1-line block ×3, first 2 shown]
	ds_load_b32 v67, v69
	ds_load_2addr_b32 v[2:3], v2 offset0:21 offset1:237
	ds_load_2addr_b32 v[8:9], v8 offset0:5 offset1:221
	ds_load_2addr_b32 v[10:11], v10 offset0:21 offset1:237
.LBB0_17:
	s_wait_alu 0xfffe
	s_or_b32 exec_lo, exec_lo, s1
	s_and_saveexec_b32 s1, vcc_lo
	s_cbranch_execz .LBB0_20
; %bb.18:
	v_mul_u32_u24_e32 v30, 6, v56
	v_mul_lo_u32 v54, s3, v34
	v_lshlrev_b64_e32 v[32:33], 3, v[32:33]
	s_delay_alu instid0(VALU_DEP_3)
	v_dual_mov_b32 v31, 0 :: v_dual_lshlrev_b32 v30, 3, v30
	s_clause 0x2
	global_load_b128 v[62:65], v30, s[4:5] offset:1712
	global_load_b128 v[73:76], v30, s[4:5] offset:1744
	;; [unrolled: 1-line block ×3, first 2 shown]
	v_mul_i32_i24_e32 v30, 6, v59
	s_delay_alu instid0(VALU_DEP_1) | instskip(SKIP_1) | instid1(VALU_DEP_1)
	v_lshlrev_b64_e32 v[69:70], 3, v[30:31]
	v_mul_i32_i24_e32 v30, 6, v58
	v_lshlrev_b64_e32 v[58:59], 3, v[30:31]
	s_delay_alu instid0(VALU_DEP_3) | instskip(SKIP_1) | instid1(VALU_DEP_4)
	v_add_co_u32 v69, vcc_lo, s4, v69
	s_wait_alu 0xfffd
	v_add_co_ci_u32_e32 v70, vcc_lo, s5, v70, vcc_lo
	v_lshrrev_b32_e32 v30, 3, v56
	s_clause 0x2
	global_load_b128 v[81:84], v[69:70], off offset:1712
	global_load_b128 v[85:88], v[69:70], off offset:1744
	;; [unrolled: 1-line block ×3, first 2 shown]
	v_add_co_u32 v58, vcc_lo, s4, v58
	s_wait_alu 0xfffd
	v_add_co_ci_u32_e32 v59, vcc_lo, s5, v59, vcc_lo
	s_clause 0x2
	global_load_b128 v[93:96], v[58:59], off offset:1712
	global_load_b128 v[97:100], v[58:59], off offset:1744
	;; [unrolled: 1-line block ×3, first 2 shown]
	v_mul_hi_u32 v30, 0x97b425f, v30
	v_mul_lo_u32 v69, s2, v35
	v_mad_co_u64_u32 v[34:35], null, s2, v34, 0
	s_delay_alu instid0(VALU_DEP_3) | instskip(NEXT) | instid1(VALU_DEP_2)
	v_mul_lo_u32 v30, 0xd8, v30
	v_add3_u32 v35, v35, v69, v54
	s_delay_alu instid0(VALU_DEP_1) | instskip(NEXT) | instid1(VALU_DEP_3)
	v_lshlrev_b64_e32 v[34:35], 3, v[34:35]
	v_sub_nc_u32_e32 v111, v56, v30
	s_delay_alu instid0(VALU_DEP_1) | instskip(SKIP_1) | instid1(VALU_DEP_4)
	v_mad_co_u64_u32 v[58:59], null, s16, v111, 0
	v_add_nc_u32_e32 v109, 0x1b0, v111
	v_add_co_u32 v108, vcc_lo, s10, v34
	s_wait_alu 0xfffd
	v_add_co_ci_u32_e32 v110, vcc_lo, s11, v35, vcc_lo
	s_delay_alu instid0(VALU_DEP_3) | instskip(SKIP_4) | instid1(VALU_DEP_3)
	v_mad_co_u64_u32 v[34:35], null, s16, v109, 0
	v_mov_b32_e32 v30, v59
	v_add_co_u32 v32, vcc_lo, v108, v32
	s_wait_alu 0xfffd
	v_add_co_ci_u32_e32 v33, vcc_lo, v110, v33, vcc_lo
	v_mad_co_u64_u32 v[105:106], null, s17, v111, v[30:31]
	v_add_nc_u32_e32 v54, 0xd8, v111
	s_delay_alu instid0(VALU_DEP_2) | instskip(NEXT) | instid1(VALU_DEP_2)
	v_dual_mov_b32 v59, v105 :: v_dual_add_nc_u32 v112, 0x288, v111
	v_mad_co_u64_u32 v[69:70], null, s16, v54, 0
	s_delay_alu instid0(VALU_DEP_2) | instskip(NEXT) | instid1(VALU_DEP_2)
	v_lshlrev_b64_e32 v[58:59], 3, v[58:59]
	v_mov_b32_e32 v30, v70
	s_delay_alu instid0(VALU_DEP_2) | instskip(SKIP_1) | instid1(VALU_DEP_3)
	v_add_co_u32 v58, vcc_lo, v32, v58
	s_wait_alu 0xfffd
	v_add_co_ci_u32_e32 v59, vcc_lo, v33, v59, vcc_lo
	s_delay_alu instid0(VALU_DEP_3) | instskip(SKIP_1) | instid1(VALU_DEP_1)
	v_mad_co_u64_u32 v[106:107], null, s17, v54, v[30:31]
	v_mov_b32_e32 v30, v35
	v_mad_co_u64_u32 v[109:110], null, s17, v109, v[30:31]
	s_wait_loadcnt_dscnt 0x706
	v_dual_mul_f32 v30, v37, v63 :: v_dual_mul_f32 v35, v44, v76
	s_delay_alu instid0(VALU_DEP_4)
	v_dual_mul_f32 v63, v13, v63 :: v_dual_mov_b32 v70, v106
	v_mul_f32_e32 v106, v38, v65
	v_dual_mul_f32 v65, v14, v65 :: v_dual_mul_f32 v110, v53, v74
	s_wait_loadcnt 0x6
	v_dual_mul_f32 v54, v40, v80 :: v_dual_mul_f32 v105, v51, v78
	v_mul_f32_e32 v78, v27, v78
	v_mul_f32_e32 v74, v29, v74
	v_fma_f32 v13, v13, v62, -v30
	v_mul_f32_e32 v76, v22, v76
	v_fma_f32 v22, v22, v75, -v35
	v_fmac_f32_e32 v65, v38, v64
	v_fma_f32 v29, v29, v73, -v110
	v_fma_f32 v27, v27, v77, -v105
	v_dual_fmac_f32 v76, v44, v75 :: v_dual_fmac_f32 v63, v37, v62
	v_sub_f32_e32 v75, v13, v22
	v_mad_co_u64_u32 v[107:108], null, s16, v112, 0
	s_wait_loadcnt_dscnt 0x400
	v_mul_f32_e32 v35, v60, v88
	v_fma_f32 v14, v14, v64, -v106
	v_mul_f32_e32 v80, v16, v80
	s_wait_loadcnt 0x3
	v_dual_mul_f32 v37, v52, v92 :: v_dual_fmac_f32 v78, v51, v77
	v_mul_f32_e32 v51, v72, v88
	s_delay_alu instid0(VALU_DEP_3) | instskip(SKIP_4) | instid1(VALU_DEP_3)
	v_dual_add_f32 v13, v13, v22 :: v_dual_fmac_f32 v80, v40, v79
	v_fmac_f32_e32 v74, v53, v73
	v_mul_f32_e32 v53, v25, v82
	v_fma_f32 v16, v16, v79, -v54
	v_dual_mul_f32 v30, v47, v82 :: v_dual_fmac_f32 v51, v60, v87
	v_dual_mul_f32 v38, v49, v90 :: v_dual_fmac_f32 v53, v47, v81
	v_mul_f32_e32 v54, v21, v90
	v_mul_f32_e32 v62, v28, v92
	v_dual_mul_f32 v64, v19, v86 :: v_dual_mul_f32 v73, v26, v84
	v_dual_mul_f32 v44, v43, v86 :: v_dual_sub_f32 v77, v16, v27
	v_dual_sub_f32 v79, v14, v29 :: v_dual_add_f32 v82, v63, v76
	v_add_f32_e32 v16, v16, v27
	v_dual_sub_f32 v22, v63, v76 :: v_dual_sub_f32 v27, v80, v78
	v_mul_f32_e32 v40, v50, v84
	s_wait_loadcnt 0x1
	v_dual_add_f32 v84, v80, v78 :: v_dual_mul_f32 v47, v23, v100
	v_dual_add_f32 v86, v65, v74 :: v_dual_mul_f32 v63, v15, v96
	v_dual_add_f32 v14, v14, v29 :: v_dual_sub_f32 v29, v65, v74
	v_fma_f32 v25, v25, v81, -v30
	v_fma_f32 v30, v72, v87, -v35
	;; [unrolled: 1-line block ×5, first 2 shown]
	v_fmac_f32_e32 v73, v50, v83
	v_fma_f32 v19, v19, v85, -v44
	v_mul_f32_e32 v35, v46, v94
	v_mul_f32_e32 v37, v45, v100
	s_wait_loadcnt 0x0
	v_dual_mul_f32 v38, v41, v104 :: v_dual_sub_f32 v87, v27, v29
	v_mul_f32_e32 v40, v48, v102
	v_dual_mul_f32 v44, v42, v98 :: v_dual_sub_f32 v65, v75, v77
	v_sub_f32_e32 v72, v77, v79
	v_dual_add_f32 v74, v77, v79 :: v_dual_sub_f32 v77, v84, v86
	v_dual_fmac_f32 v62, v52, v91 :: v_dual_add_f32 v83, v13, v14
	v_dual_sub_f32 v81, v16, v14 :: v_dual_fmac_f32 v64, v43, v85
	v_dual_mul_f32 v43, v39, v96 :: v_dual_fmac_f32 v54, v49, v89
	v_sub_f32_e32 v85, v22, v27
	v_mul_f32_e32 v49, v24, v94
	v_dual_mul_f32 v50, v20, v102 :: v_dual_add_f32 v89, v53, v51
	v_mul_f32_e32 v52, v17, v104
	v_sub_f32_e32 v76, v82, v84
	v_dual_add_f32 v78, v82, v86 :: v_dual_fmac_f32 v47, v45, v99
	v_dual_sub_f32 v80, v13, v16 :: v_dual_add_f32 v27, v27, v29
	v_dual_sub_f32 v79, v79, v75 :: v_dual_sub_f32 v82, v86, v82
	v_dual_fmac_f32 v63, v39, v95 :: v_dual_sub_f32 v14, v14, v13
	v_sub_f32_e32 v29, v29, v22
	v_dual_mul_f32 v60, v18, v98 :: v_dual_add_f32 v91, v73, v64
	v_dual_sub_f32 v86, v25, v30 :: v_dual_mul_f32 v39, 0x3d64c772, v77
	v_sub_f32_e32 v13, v28, v21
	v_add_f32_e32 v25, v25, v30
	v_dual_add_f32 v21, v28, v21 :: v_dual_sub_f32 v28, v62, v54
	v_sub_f32_e32 v30, v73, v64
	v_fma_f32 v17, v17, v103, -v38
	v_fma_f32 v20, v20, v101, -v40
	;; [unrolled: 1-line block ×4, first 2 shown]
	v_fmac_f32_e32 v49, v46, v93
	v_sub_f32_e32 v88, v26, v19
	v_add_f32_e32 v19, v26, v19
	v_dual_add_f32 v90, v62, v54 :: v_dual_mul_f32 v43, 0xbf08b237, v87
	v_dual_sub_f32 v26, v53, v51 :: v_dual_sub_f32 v45, v86, v13
	v_fma_f32 v24, v24, v93, -v35
	v_fma_f32 v23, v23, v99, -v37
	s_delay_alu instid0(VALU_DEP_3)
	v_dual_fmac_f32 v52, v41, v103 :: v_dual_sub_f32 v73, v26, v28
	v_dual_fmac_f32 v60, v42, v97 :: v_dual_mul_f32 v35, 0xbf08b237, v72
	v_add_f32_e32 v37, v75, v74
	v_sub_f32_e32 v75, v88, v86
	v_dual_add_f32 v40, v84, v78 :: v_dual_sub_f32 v77, v91, v89
	v_dual_mul_f32 v41, 0x3f4a47b2, v80 :: v_dual_fmac_f32 v50, v48, v101
	v_dual_sub_f32 v51, v89, v90 :: v_dual_mul_f32 v38, 0x3f4a47b2, v76
	v_sub_f32_e32 v53, v90, v91
	v_add_f32_e32 v16, v16, v83
	v_add_f32_e32 v22, v22, v27
	v_mul_f32_e32 v27, 0x3f5ff5aa, v79
	v_mul_f32_e32 v42, 0x3d64c772, v81
	v_dual_mul_f32 v44, 0x3f5ff5aa, v29 :: v_dual_add_f32 v83, v49, v47
	v_sub_f32_e32 v46, v13, v88
	v_add_f32_e32 v48, v13, v88
	v_dual_add_f32 v54, v89, v91 :: v_dual_add_f32 v87, v63, v60
	v_add_f32_e32 v72, v25, v19
	v_sub_f32_e32 v74, v28, v30
	v_dual_sub_f32 v78, v17, v20 :: v_dual_sub_f32 v81, v15, v18
	v_add_f32_e32 v17, v17, v20
	v_add_f32_e32 v15, v15, v18
	v_fma_f32 v29, 0x3f5ff5aa, v29, -v43
	v_sub_f32_e32 v62, v25, v21
	v_dual_sub_f32 v64, v21, v19 :: v_dual_add_f32 v13, v36, v40
	v_dual_add_f32 v28, v28, v30 :: v_dual_sub_f32 v19, v19, v25
	v_dual_sub_f32 v25, v30, v26 :: v_dual_sub_f32 v30, v24, v23
	v_add_f32_e32 v84, v52, v50
	v_add_f32_e32 v23, v24, v23
	v_sub_f32_e32 v20, v52, v50
	v_add_f32_e32 v12, v12, v16
	v_fmamk_f32 v50, v85, 0x3eae86e6, v43
	v_fma_f32 v38, 0xbf3bfb3b, v82, -v38
	v_mul_f32_e32 v43, 0xbf08b237, v46
	v_dual_mul_f32 v52, 0x3d64c772, v53 :: v_dual_add_f32 v53, v90, v54
	v_sub_f32_e32 v24, v63, v60
	v_add_f32_e32 v21, v21, v72
	v_dual_mul_f32 v63, 0xbf08b237, v74 :: v_dual_sub_f32 v18, v49, v47
	v_fmamk_f32 v47, v65, 0x3eae86e6, v35
	v_fmamk_f32 v49, v76, 0x3f4a47b2, v39
	v_fma_f32 v39, 0x3f3bfb3b, v82, -v39
	v_dual_sub_f32 v72, v78, v81 :: v_dual_fmac_f32 v29, 0x3ee1c552, v22
	v_sub_f32_e32 v82, v17, v15
	v_fmamk_f32 v36, v80, 0x3f4a47b2, v42
	v_fma_f32 v27, 0xbeae86e6, v65, -v27
	v_fma_f32 v41, 0xbf3bfb3b, v14, -v41
	;; [unrolled: 1-line block ×4, first 2 shown]
	v_dual_add_f32 v46, v86, v48 :: v_dual_fmac_f32 v47, 0x3ee1c552, v37
	v_dual_mul_f32 v60, 0x3d64c772, v64 :: v_dual_sub_f32 v65, v30, v78
	v_add_f32_e32 v74, v78, v81
	v_dual_sub_f32 v76, v83, v84 :: v_dual_fmac_f32 v35, 0x3ee1c552, v37
	v_add_f32_e32 v79, v83, v87
	v_dual_sub_f32 v83, v87, v83 :: v_dual_fmamk_f32 v16, v16, 0xbf955555, v12
	v_mul_f32_e32 v64, 0x3f5ff5aa, v25
	v_dual_add_f32 v14, v71, v21 :: v_dual_mul_f32 v71, 0x3d64c772, v82
	v_sub_f32_e32 v78, v84, v87
	v_fma_f32 v44, 0xbeae86e6, v85, -v44
	v_mul_f32_e32 v54, 0x3f4a47b2, v62
	v_dual_add_f32 v26, v26, v28 :: v_dual_fmac_f32 v27, 0x3ee1c552, v37
	v_sub_f32_e32 v80, v23, v17
	v_add_f32_e32 v85, v23, v15
	v_sub_f32_e32 v23, v15, v23
	v_fmamk_f32 v87, v45, 0x3eae86e6, v43
	v_add_f32_e32 v15, v61, v53
	v_fmamk_f32 v61, v73, 0x3eae86e6, v63
	v_fma_f32 v43, 0x3f5ff5aa, v75, -v43
	v_fma_f32 v63, 0x3f5ff5aa, v25, -v63
	v_mul_f32_e32 v25, 0x3d64c772, v78
	v_dual_mul_f32 v48, 0x3f4a47b2, v51 :: v_dual_fmamk_f32 v37, v51, 0x3f4a47b2, v52
	v_fmamk_f32 v51, v62, 0x3f4a47b2, v60
	v_add_f32_e32 v41, v41, v16
	v_fma_f32 v62, 0xbeae86e6, v73, -v64
	v_dual_add_f32 v64, v84, v79 :: v_dual_fmac_f32 v43, 0x3ee1c552, v46
	v_fmamk_f32 v40, v40, 0xbf955555, v13
	v_fma_f32 v54, 0xbf3bfb3b, v19, -v54
	v_fma_f32 v60, 0x3f3bfb3b, v19, -v60
	v_dual_mul_f32 v19, 0xbf08b237, v72 :: v_dual_add_f32 v72, v17, v85
	v_fmac_f32_e32 v63, 0x3ee1c552, v26
	v_dual_add_f32 v17, v55, v64 :: v_dual_mul_f32 v28, 0x3f5ff5aa, v75
	v_add_f32_e32 v49, v49, v40
	v_dual_sub_f32 v86, v18, v20 :: v_dual_fmac_f32 v87, 0x3ee1c552, v46
	v_sub_f32_e32 v81, v81, v30
	s_delay_alu instid0(VALU_DEP_4) | instskip(SKIP_2) | instid1(VALU_DEP_3)
	v_fma_f32 v45, 0xbeae86e6, v45, -v28
	v_dual_add_f32 v30, v30, v74 :: v_dual_fmamk_f32 v75, v65, 0x3eae86e6, v19
	v_fmac_f32_e32 v50, 0x3ee1c552, v22
	v_dual_add_f32 v38, v38, v40 :: v_dual_fmac_f32 v45, 0x3ee1c552, v46
	v_sub_f32_e32 v88, v20, v24
	v_dual_add_f32 v20, v20, v24 :: v_dual_fmac_f32 v61, 0x3ee1c552, v26
	v_dual_add_f32 v39, v39, v40 :: v_dual_fmac_f32 v44, 0x3ee1c552, v22
	v_dual_mul_f32 v22, 0x3f4a47b2, v76 :: v_dual_fmamk_f32 v55, v80, 0x3f4a47b2, v71
	s_delay_alu instid0(VALU_DEP_3)
	v_add_f32_e32 v74, v18, v20
	v_add_f32_e32 v40, v42, v16
	v_fmamk_f32 v42, v53, 0xbf955555, v15
	v_dual_fmamk_f32 v53, v21, 0xbf955555, v14 :: v_dual_sub_f32 v24, v24, v18
	v_mul_f32_e32 v73, 0xbf08b237, v88
	v_fmac_f32_e32 v75, 0x3ee1c552, v30
	v_mul_f32_e32 v18, 0x3f5ff5aa, v81
	v_fma_f32 v48, 0xbf3bfb3b, v77, -v48
	v_fma_f32 v52, 0x3f3bfb3b, v77, -v52
	v_dual_mul_f32 v28, 0x3f4a47b2, v80 :: v_dual_add_f32 v21, v27, v38
	v_mul_f32_e32 v20, 0x3f5ff5aa, v24
	v_add_f32_e32 v36, v36, v16
	v_fmamk_f32 v76, v76, 0x3f4a47b2, v25
	v_fma_f32 v77, 0xbf3bfb3b, v83, -v22
	v_fma_f32 v80, 0x3f3bfb3b, v83, -v25
	v_fma_f32 v81, 0x3f5ff5aa, v81, -v19
	v_dual_add_f32 v19, v47, v49 :: v_dual_add_f32 v22, v29, v40
	v_add_f32_e32 v25, v35, v39
	v_sub_f32_e32 v27, v38, v27
	s_delay_alu instid0(VALU_DEP_4)
	v_fmac_f32_e32 v81, 0x3ee1c552, v30
	v_fma_f32 v65, 0xbeae86e6, v65, -v18
	v_add_f32_e32 v16, v68, v72
	v_fmamk_f32 v68, v86, 0x3eae86e6, v73
	v_fma_f32 v73, 0x3f5ff5aa, v24, -v73
	v_dual_sub_f32 v24, v40, v29 :: v_dual_sub_f32 v29, v49, v47
	v_fmamk_f32 v49, v64, 0xbf955555, v17
	v_fma_f32 v78, 0xbf3bfb3b, v23, -v28
	s_delay_alu instid0(VALU_DEP_4) | instskip(SKIP_4) | instid1(VALU_DEP_4)
	v_fmac_f32_e32 v73, 0x3ee1c552, v74
	v_fma_f32 v79, 0xbeae86e6, v86, -v20
	v_fma_f32 v71, 0x3f3bfb3b, v23, -v71
	v_dual_sub_f32 v23, v39, v35 :: v_dual_sub_f32 v20, v41, v44
	v_add_f32_e32 v47, v54, v53
	v_fmac_f32_e32 v79, 0x3ee1c552, v74
	v_add_f32_e32 v35, v37, v42
	v_fmac_f32_e32 v62, 0x3ee1c552, v26
	v_add_f32_e32 v26, v44, v41
	v_add_f32_e32 v54, v80, v49
	;; [unrolled: 1-line block ×3, first 2 shown]
	v_dual_add_f32 v48, v60, v53 :: v_dual_fmac_f32 v65, 0x3ee1c552, v30
	v_add_f32_e32 v60, v77, v49
	v_add_f32_e32 v46, v51, v53
	v_sub_f32_e32 v53, v54, v81
	v_add_f32_e32 v28, v50, v36
	v_add_f32_e32 v39, v45, v44
	v_sub_f32_e32 v45, v44, v45
	;; [unrolled: 3-line block ×3, first 2 shown]
	v_dual_fmamk_f32 v50, v72, 0xbf955555, v16 :: v_dual_add_f32 v37, v87, v35
	s_delay_alu instid0(VALU_DEP_4) | instskip(NEXT) | instid1(VALU_DEP_4)
	v_add_f32_e32 v49, v75, v30
	v_dual_sub_f32 v38, v47, v62 :: v_dual_sub_f32 v41, v42, v43
	v_add_f32_e32 v43, v43, v42
	v_fmac_f32_e32 v68, 0x3ee1c552, v74
	v_add_f32_e32 v44, v62, v47
	v_sub_f32_e32 v47, v35, v87
	v_add_f32_e32 v35, v55, v50
	v_dual_add_f32 v62, v78, v50 :: v_dual_add_f32 v51, v65, v60
	v_sub_f32_e32 v36, v46, v61
	v_add_f32_e32 v46, v61, v46
	v_add_f32_e32 v61, v71, v50
	v_dual_add_f32 v40, v63, v48 :: v_dual_add_f32 v55, v81, v54
	v_dual_sub_f32 v42, v48, v63 :: v_dual_add_nc_u32 v71, 63, v56
	v_dual_sub_f32 v63, v30, v75 :: v_dual_mov_b32 v30, v108
	v_sub_f32_e32 v50, v62, v79
	v_add_f32_e32 v52, v73, v61
	v_sub_f32_e32 v54, v61, v73
	v_dual_sub_f32 v61, v60, v65 :: v_dual_sub_f32 v48, v35, v68
	v_add_f32_e32 v60, v79, v62
	v_add_f32_e32 v62, v68, v35
	v_add_nc_u32_e32 v68, 0x360, v111
	global_store_b64 v[58:59], v[12:13], off
	v_mad_co_u64_u32 v[58:59], null, s17, v112, v[30:31]
	v_lshrrev_b32_e32 v59, 3, v71
	v_mad_co_u64_u32 v[64:65], null, s16, v68, 0
	v_lshlrev_b64_e32 v[12:13], 3, v[69:70]
	v_mov_b32_e32 v35, v109
	s_delay_alu instid0(VALU_DEP_4)
	v_mul_hi_u32 v73, 0x97b425f, v59
	v_mov_b32_e32 v108, v58
	v_add_nc_u32_e32 v76, 0x510, v111
	v_dual_mov_b32 v30, v65 :: v_dual_add_nc_u32 v75, 0x438, v111
	v_lshlrev_b64_e32 v[34:35], 3, v[34:35]
	v_add_co_u32 v12, vcc_lo, v32, v12
	v_lshlrev_b64_e32 v[58:59], 3, v[107:108]
	s_delay_alu instid0(VALU_DEP_4)
	v_mad_co_u64_u32 v[68:69], null, s17, v68, v[30:31]
	v_mul_lo_u32 v30, 0xd8, v73
	s_wait_alu 0xfffd
	v_add_co_ci_u32_e32 v13, vcc_lo, v33, v13, vcc_lo
	v_add_co_u32 v34, vcc_lo, v32, v34
	s_wait_alu 0xfffd
	v_add_co_ci_u32_e32 v35, vcc_lo, v33, v35, vcc_lo
	v_add_co_u32 v58, vcc_lo, v32, v58
	v_sub_nc_u32_e32 v30, v71, v30
	v_mad_co_u64_u32 v[71:72], null, s16, v76, 0
	v_mad_co_u64_u32 v[69:70], null, s16, v75, 0
	s_delay_alu instid0(VALU_DEP_3)
	v_mad_co_u64_u32 v[73:74], null, 0x5e8, v73, v[30:31]
	s_wait_alu 0xfffd
	v_add_co_ci_u32_e32 v59, vcc_lo, v33, v59, vcc_lo
	s_clause 0x2
	global_store_b64 v[12:13], v[28:29], off
	global_store_b64 v[34:35], v[26:27], off
	;; [unrolled: 1-line block ×3, first 2 shown]
	v_dual_mov_b32 v24, v72 :: v_dual_mov_b32 v65, v68
	v_mad_co_u64_u32 v[25:26], null, s16, v73, 0
	v_mov_b32_e32 v68, v70
	s_delay_alu instid0(VALU_DEP_3) | instskip(SKIP_1) | instid1(VALU_DEP_3)
	v_lshlrev_b64_e32 v[12:13], 3, v[64:65]
	v_add_nc_u32_e32 v64, 0xd8, v73
	v_mad_co_u64_u32 v[74:75], null, s17, v75, v[68:69]
	v_mad_co_u64_u32 v[27:28], null, s17, v76, v[24:25]
	v_mov_b32_e32 v24, v26
	s_delay_alu instid0(VALU_DEP_4)
	v_mad_co_u64_u32 v[34:35], null, s16, v64, 0
	v_add_co_u32 v12, vcc_lo, v32, v12
	v_mov_b32_e32 v70, v74
	v_mov_b32_e32 v72, v27
	v_mad_co_u64_u32 v[26:27], null, s17, v73, v[24:25]
	v_mov_b32_e32 v24, v35
	s_delay_alu instid0(VALU_DEP_4) | instskip(SKIP_4) | instid1(VALU_DEP_4)
	v_lshlrev_b64_e32 v[28:29], 3, v[69:70]
	s_wait_alu 0xfffd
	v_add_co_ci_u32_e32 v13, vcc_lo, v33, v13, vcc_lo
	v_add_nc_u32_e32 v70, 0x1b0, v73
	v_lshlrev_b64_e32 v[25:26], 3, v[25:26]
	v_add_co_u32 v27, vcc_lo, v32, v28
	s_wait_alu 0xfffd
	v_add_co_ci_u32_e32 v28, vcc_lo, v33, v29, vcc_lo
	v_lshlrev_b64_e32 v[29:30], 3, v[71:72]
	s_delay_alu instid0(VALU_DEP_4) | instskip(SKIP_2) | instid1(VALU_DEP_4)
	v_mad_co_u64_u32 v[64:65], null, s17, v64, v[24:25]
	v_add_nc_u32_e32 v65, 0x288, v73
	v_mad_co_u64_u32 v[58:59], null, s16, v70, 0
	v_add_co_u32 v29, vcc_lo, v32, v29
	s_delay_alu instid0(VALU_DEP_3)
	v_mad_co_u64_u32 v[68:69], null, s16, v65, 0
	s_wait_alu 0xfffd
	v_add_co_ci_u32_e32 v30, vcc_lo, v33, v30, vcc_lo
	v_add_co_u32 v25, vcc_lo, v32, v25
	s_wait_alu 0xfffd
	v_add_co_ci_u32_e32 v26, vcc_lo, v33, v26, vcc_lo
	s_clause 0x3
	global_store_b64 v[12:13], v[22:23], off
	global_store_b64 v[27:28], v[20:21], off
	;; [unrolled: 1-line block ×4, first 2 shown]
	v_dual_mov_b32 v16, v69 :: v_dual_add_nc_u32 v23, 0x360, v73
	v_add_nc_u32_e32 v26, 0x7e, v56
	v_mov_b32_e32 v24, v59
	v_add_nc_u32_e32 v30, 0x438, v73
	s_delay_alu instid0(VALU_DEP_4)
	v_mad_co_u64_u32 v[16:17], null, s17, v65, v[16:17]
	v_mad_co_u64_u32 v[17:18], null, s16, v23, 0
	v_lshrrev_b32_e32 v21, 3, v26
	v_mad_co_u64_u32 v[70:71], null, s17, v70, v[24:25]
	v_mov_b32_e32 v35, v64
	v_mov_b32_e32 v69, v16
	s_delay_alu instid0(VALU_DEP_4) | instskip(SKIP_1) | instid1(VALU_DEP_4)
	v_mul_hi_u32 v28, 0x97b425f, v21
	v_mov_b32_e32 v16, v18
	v_lshlrev_b64_e32 v[12:13], 3, v[34:35]
	v_mov_b32_e32 v59, v70
	v_lshlrev_b64_e32 v[21:22], 3, v[68:69]
	s_delay_alu instid0(VALU_DEP_4)
	v_mad_co_u64_u32 v[23:24], null, s17, v23, v[16:17]
	v_mul_lo_u32 v16, 0xd8, v28
	v_mad_co_u64_u32 v[24:25], null, s16, v30, 0
	v_lshlrev_b64_e32 v[19:20], 3, v[58:59]
	v_add_co_u32 v12, vcc_lo, v32, v12
	v_mov_b32_e32 v18, v23
	v_add_nc_u32_e32 v34, 0x510, v73
	v_sub_nc_u32_e32 v16, v26, v16
	v_mov_b32_e32 v23, v25
	s_wait_alu 0xfffd
	v_add_co_ci_u32_e32 v13, vcc_lo, v33, v13, vcc_lo
	v_add_co_u32 v19, vcc_lo, v32, v19
	v_mad_co_u64_u32 v[28:29], null, 0x5e8, v28, v[16:17]
	v_mad_co_u64_u32 v[29:30], null, s17, v30, v[23:24]
	s_wait_alu 0xfffd
	v_add_co_ci_u32_e32 v20, vcc_lo, v33, v20, vcc_lo
	v_add_co_u32 v21, vcc_lo, v32, v21
	v_mad_co_u64_u32 v[26:27], null, s16, v34, 0
	s_wait_alu 0xfffd
	v_add_co_ci_u32_e32 v22, vcc_lo, v33, v22, vcc_lo
	v_mov_b32_e32 v25, v29
	s_clause 0x2
	global_store_b64 v[12:13], v[62:63], off
	global_store_b64 v[19:20], v[60:61], off
	;; [unrolled: 1-line block ×3, first 2 shown]
	v_lshlrev_b64_e32 v[12:13], 3, v[17:18]
	v_mad_co_u64_u32 v[17:18], null, s16, v28, 0
	v_dual_mov_b32 v16, v27 :: v_dual_add_nc_u32 v29, 0x438, v28
	s_delay_alu instid0(VALU_DEP_3) | instskip(SKIP_1) | instid1(VALU_DEP_4)
	v_add_co_u32 v12, vcc_lo, v32, v12
	s_wait_alu 0xfffd
	v_add_co_ci_u32_e32 v13, vcc_lo, v33, v13, vcc_lo
	s_delay_alu instid0(VALU_DEP_3) | instskip(SKIP_2) | instid1(VALU_DEP_3)
	v_mad_co_u64_u32 v[19:20], null, s17, v34, v[16:17]
	v_mov_b32_e32 v16, v18
	v_lshlrev_b64_e32 v[20:21], 3, v[24:25]
	v_dual_mov_b32 v27, v19 :: v_dual_add_nc_u32 v24, 0xd8, v28
	s_delay_alu instid0(VALU_DEP_3) | instskip(NEXT) | instid1(VALU_DEP_2)
	v_mad_co_u64_u32 v[18:19], null, s17, v28, v[16:17]
	v_mad_co_u64_u32 v[22:23], null, s16, v24, 0
	global_store_b64 v[12:13], v[52:53], off
	v_lshlrev_b64_e32 v[12:13], 3, v[26:27]
	v_add_co_u32 v19, vcc_lo, v32, v20
	v_lshlrev_b64_e32 v[17:18], 3, v[17:18]
	s_wait_alu 0xfffd
	v_add_co_ci_u32_e32 v20, vcc_lo, v33, v21, vcc_lo
	v_dual_mov_b32 v16, v23 :: v_dual_add_nc_u32 v21, 0x1b0, v28
	v_add_co_u32 v12, vcc_lo, v32, v12
	s_wait_alu 0xfffd
	v_add_co_ci_u32_e32 v13, vcc_lo, v33, v13, vcc_lo
	s_delay_alu instid0(VALU_DEP_3)
	v_mad_co_u64_u32 v[23:24], null, s17, v24, v[16:17]
	v_mad_co_u64_u32 v[24:25], null, s16, v21, 0
	v_add_co_u32 v16, vcc_lo, v32, v17
	s_wait_alu 0xfffd
	v_add_co_ci_u32_e32 v17, vcc_lo, v33, v18, vcc_lo
	s_clause 0x1
	global_store_b64 v[19:20], v[50:51], off
	global_store_b64 v[12:13], v[48:49], off
	v_add_nc_u32_e32 v26, 0x288, v28
	v_mov_b32_e32 v12, v25
	global_store_b64 v[16:17], v[14:15], off
	v_lshlrev_b64_e32 v[13:14], 3, v[22:23]
	v_add_nc_u32_e32 v27, 0x360, v28
	s_delay_alu instid0(VALU_DEP_2)
	v_mad_co_u64_u32 v[15:16], null, s17, v21, v[12:13]
	v_add_co_u32 v12, vcc_lo, v32, v13
	v_mad_co_u64_u32 v[16:17], null, s16, v26, 0
	s_wait_alu 0xfffd
	v_add_co_ci_u32_e32 v13, vcc_lo, v33, v14, vcc_lo
	v_mad_co_u64_u32 v[18:19], null, s16, v27, 0
	v_mov_b32_e32 v25, v15
	global_store_b64 v[12:13], v[46:47], off
	v_mad_co_u64_u32 v[13:14], null, s16, v29, 0
	v_mov_b32_e32 v12, v17
	v_lshlrev_b64_e32 v[20:21], 3, v[24:25]
	v_mov_b32_e32 v15, v19
	s_delay_alu instid0(VALU_DEP_3) | instskip(SKIP_1) | instid1(VALU_DEP_3)
	v_mad_co_u64_u32 v[22:23], null, s17, v26, v[12:13]
	v_add_nc_u32_e32 v26, 0x510, v28
	v_mad_co_u64_u32 v[23:24], null, s17, v27, v[15:16]
	v_mov_b32_e32 v12, v14
	v_add_co_u32 v14, vcc_lo, v32, v20
	s_delay_alu instid0(VALU_DEP_4) | instskip(SKIP_4) | instid1(VALU_DEP_4)
	v_mad_co_u64_u32 v[24:25], null, s16, v26, 0
	s_wait_alu 0xfffd
	v_add_co_ci_u32_e32 v15, vcc_lo, v33, v21, vcc_lo
	v_mad_co_u64_u32 v[20:21], null, s17, v29, v[12:13]
	v_mov_b32_e32 v17, v22
	v_dual_mov_b32 v19, v23 :: v_dual_mov_b32 v12, v25
	global_store_b64 v[14:15], v[44:45], off
	v_lshlrev_b64_e32 v[15:16], 3, v[16:17]
	v_mov_b32_e32 v14, v20
	v_mad_co_u64_u32 v[21:22], null, s17, v26, v[12:13]
	v_lshlrev_b64_e32 v[17:18], 3, v[18:19]
	s_delay_alu instid0(VALU_DEP_4) | instskip(NEXT) | instid1(VALU_DEP_4)
	v_add_co_u32 v15, vcc_lo, v32, v15
	v_lshlrev_b64_e32 v[12:13], 3, v[13:14]
	s_wait_alu 0xfffd
	v_add_co_ci_u32_e32 v16, vcc_lo, v33, v16, vcc_lo
	v_mov_b32_e32 v25, v21
	v_add_co_u32 v17, vcc_lo, v32, v17
	s_wait_alu 0xfffd
	v_add_co_ci_u32_e32 v18, vcc_lo, v33, v18, vcc_lo
	s_delay_alu instid0(VALU_DEP_3) | instskip(SKIP_4) | instid1(VALU_DEP_4)
	v_lshlrev_b64_e32 v[19:20], 3, v[24:25]
	v_add_co_u32 v21, vcc_lo, v32, v12
	v_add_nc_u32_e32 v12, 0xbd, v56
	s_wait_alu 0xfffd
	v_add_co_ci_u32_e32 v22, vcc_lo, v33, v13, vcc_lo
	v_add_co_u32 v13, vcc_lo, v32, v19
	s_wait_alu 0xfffd
	v_add_co_ci_u32_e32 v14, vcc_lo, v33, v20, vcc_lo
	v_cmp_gt_u32_e32 vcc_lo, 0xd8, v12
	s_clause 0x3
	global_store_b64 v[15:16], v[42:43], off
	global_store_b64 v[17:18], v[40:41], off
	;; [unrolled: 1-line block ×4, first 2 shown]
	s_and_b32 exec_lo, exec_lo, vcc_lo
	s_cbranch_execz .LBB0_20
; %bb.19:
	v_subrev_nc_u32_e32 v13, 27, v56
	v_add_nc_u32_e32 v48, 0x4f5, v56
	v_mad_co_u64_u32 v[25:26], null, s16, v12, 0
	v_add_nc_u32_e32 v49, 0x5cd, v56
	s_delay_alu instid0(VALU_DEP_4) | instskip(NEXT) | instid1(VALU_DEP_4)
	v_cndmask_b32_e64 v13, v13, v57, s0
	v_mad_co_u64_u32 v[38:39], null, s16, v48, 0
	v_add_nc_u32_e32 v44, 0x195, v56
	s_delay_alu instid0(VALU_DEP_4) | instskip(NEXT) | instid1(VALU_DEP_4)
	v_mad_co_u64_u32 v[40:41], null, s16, v49, 0
	v_mul_i32_i24_e32 v30, 6, v13
	v_add_nc_u32_e32 v46, 0x345, v56
	s_delay_alu instid0(VALU_DEP_2)
	v_lshlrev_b64_e32 v[13:14], 3, v[30:31]
	v_mov_b32_e32 v31, v39
	v_mad_co_u64_u32 v[27:28], null, s16, v44, 0
	v_add_nc_u32_e32 v45, 0x26d, v56
	v_mad_co_u64_u32 v[34:35], null, s16, v46, 0
	v_add_co_u32 v21, vcc_lo, s4, v13
	s_wait_alu 0xfffd
	v_add_co_ci_u32_e32 v22, vcc_lo, s5, v14, vcc_lo
	v_mad_co_u64_u32 v[42:43], null, s17, v12, v[26:27]
	v_mov_b32_e32 v12, v28
	s_clause 0x2
	global_load_b128 v[13:16], v[21:22], off offset:1712
	global_load_b128 v[17:20], v[21:22], off offset:1728
	;; [unrolled: 1-line block ×3, first 2 shown]
	v_mad_co_u64_u32 v[29:30], null, s16, v45, 0
	v_dual_mov_b32 v28, v35 :: v_dual_add_nc_u32 v47, 0x41d, v56
	s_delay_alu instid0(VALU_DEP_2) | instskip(NEXT) | instid1(VALU_DEP_2)
	v_dual_mov_b32 v35, v41 :: v_dual_mov_b32 v26, v30
	v_mad_co_u64_u32 v[36:37], null, s16, v47, 0
	s_delay_alu instid0(VALU_DEP_1)
	v_mov_b32_e32 v30, v37
	s_wait_loadcnt 0x2
	v_mad_co_u64_u32 v[43:44], null, s17, v44, v[12:13]
	v_mad_co_u64_u32 v[44:45], null, s17, v45, v[26:27]
	v_mov_b32_e32 v26, v42
	v_mad_co_u64_u32 v[41:42], null, s17, v48, v[31:32]
	v_mad_co_u64_u32 v[45:46], null, s17, v46, v[28:29]
	;; [unrolled: 1-line block ×4, first 2 shown]
	s_delay_alu instid0(VALU_DEP_4)
	v_dual_mov_b32 v39, v41 :: v_dual_mov_b32 v28, v43
	v_lshlrev_b64_e32 v[25:26], 3, v[25:26]
	v_dual_mov_b32 v30, v44 :: v_dual_mov_b32 v35, v45
	v_mov_b32_e32 v37, v46
	v_mov_b32_e32 v41, v47
	v_lshlrev_b64_e32 v[27:28], 3, v[27:28]
	s_delay_alu instid0(VALU_DEP_4)
	v_lshlrev_b64_e32 v[29:30], 3, v[29:30]
	v_add_co_u32 v25, vcc_lo, v32, v25
	s_wait_alu 0xfffd
	v_add_co_ci_u32_e32 v26, vcc_lo, v33, v26, vcc_lo
	v_lshlrev_b64_e32 v[34:35], 3, v[34:35]
	v_add_co_u32 v27, vcc_lo, v32, v27
	s_wait_alu 0xfffd
	v_add_co_ci_u32_e32 v28, vcc_lo, v33, v28, vcc_lo
	;; [unrolled: 4-line block ×3, first 2 shown]
	v_lshlrev_b64_e32 v[38:39], 3, v[38:39]
	v_add_co_u32 v34, vcc_lo, v32, v34
	v_mul_f32_e32 v12, v2, v14
	s_wait_loadcnt 0x0
	v_dual_mul_f32 v14, v0, v14 :: v_dual_mul_f32 v43, v11, v24
	v_mul_f32_e32 v24, v5, v24
	s_wait_alu 0xfffd
	v_add_co_ci_u32_e32 v35, vcc_lo, v33, v35, vcc_lo
	v_lshlrev_b64_e32 v[40:41], 3, v[40:41]
	v_add_co_u32 v36, vcc_lo, v32, v36
	s_wait_alu 0xfffd
	v_add_co_ci_u32_e32 v37, vcc_lo, v33, v37, vcc_lo
	v_add_co_u32 v38, vcc_lo, v32, v38
	v_mul_f32_e32 v42, v10, v22
	v_fmac_f32_e32 v14, v2, v13
	v_fmac_f32_e32 v24, v11, v23
	v_mul_f32_e32 v22, v4, v22
	s_wait_alu 0xfffd
	v_add_co_ci_u32_e32 v39, vcc_lo, v33, v39, vcc_lo
	v_add_co_u32 v31, vcc_lo, v32, v40
	s_wait_alu 0xfffd
	v_add_co_ci_u32_e32 v32, vcc_lo, v33, v41, vcc_lo
	v_dual_mul_f32 v40, v8, v18 :: v_dual_mul_f32 v41, v9, v20
	v_fma_f32 v4, v4, v21, -v42
	v_mul_f32_e32 v18, v6, v18
	v_fmac_f32_e32 v22, v10, v21
	v_mul_f32_e32 v20, v7, v20
	v_mul_f32_e32 v33, v3, v16
	v_fma_f32 v0, v0, v13, -v12
	v_fmac_f32_e32 v18, v8, v17
	v_fma_f32 v5, v5, v23, -v43
	v_fmac_f32_e32 v20, v9, v19
	v_mul_f32_e32 v16, v1, v16
	v_fma_f32 v1, v1, v15, -v33
	s_delay_alu instid0(VALU_DEP_2) | instskip(SKIP_3) | instid1(VALU_DEP_1)
	v_dual_add_f32 v11, v18, v20 :: v_dual_fmac_f32 v16, v3, v15
	v_fma_f32 v3, v7, v19, -v41
	v_add_f32_e32 v7, v14, v24
	v_fma_f32 v2, v6, v17, -v40
	v_dual_add_f32 v9, v16, v22 :: v_dual_add_f32 v10, v2, v3
	s_delay_alu instid0(VALU_DEP_1)
	v_dual_sub_f32 v2, v3, v2 :: v_dual_add_f32 v13, v9, v7
	v_add_f32_e32 v8, v1, v4
	v_dual_sub_f32 v1, v1, v4 :: v_dual_sub_f32 v4, v16, v22
	v_sub_f32_e32 v15, v9, v7
	v_sub_f32_e32 v7, v7, v11
	;; [unrolled: 1-line block ×4, first 2 shown]
	v_add_f32_e32 v6, v0, v5
	s_delay_alu instid0(VALU_DEP_4) | instskip(SKIP_1) | instid1(VALU_DEP_4)
	v_dual_sub_f32 v0, v0, v5 :: v_dual_mul_f32 v7, 0x3f4a47b2, v7
	v_sub_f32_e32 v5, v14, v24
	v_dual_add_f32 v17, v3, v4 :: v_dual_sub_f32 v18, v2, v1
	v_sub_f32_e32 v19, v3, v4
	s_delay_alu instid0(VALU_DEP_4) | instskip(NEXT) | instid1(VALU_DEP_4)
	v_sub_f32_e32 v20, v1, v0
	v_sub_f32_e32 v3, v5, v3
	v_dual_add_f32 v11, v11, v13 :: v_dual_add_f32 v12, v8, v6
	v_sub_f32_e32 v14, v8, v6
	v_sub_f32_e32 v8, v10, v8
	s_delay_alu instid0(VALU_DEP_1) | instskip(SKIP_3) | instid1(VALU_DEP_4)
	v_dual_mul_f32 v13, 0x3d64c772, v8 :: v_dual_sub_f32 v4, v4, v5
	v_add_f32_e32 v5, v17, v5
	v_dual_mul_f32 v17, 0xbf08b237, v18 :: v_dual_mul_f32 v18, 0xbf08b237, v19
	v_dual_mul_f32 v19, 0x3f5ff5aa, v20 :: v_dual_add_f32 v16, v2, v1
	v_dual_sub_f32 v6, v6, v10 :: v_dual_mul_f32 v21, 0x3f5ff5aa, v4
	v_dual_add_f32 v10, v10, v12 :: v_dual_add_f32 v1, v67, v11
	s_delay_alu instid0(VALU_DEP_3) | instskip(SKIP_3) | instid1(VALU_DEP_3)
	v_add_f32_e32 v12, v16, v0
	v_dual_mul_f32 v16, 0x3d64c772, v9 :: v_dual_fmamk_f32 v9, v9, 0x3d64c772, v7
	v_fma_f32 v7, 0xbf3bfb3b, v15, -v7
	v_fma_f32 v13, 0x3f3bfb3b, v14, -v13
	;; [unrolled: 1-line block ×3, first 2 shown]
	v_mul_f32_e32 v6, 0x3f4a47b2, v6
	v_dual_fmamk_f32 v15, v3, 0x3eae86e6, v18 :: v_dual_sub_f32 v2, v0, v2
	s_delay_alu instid0(VALU_DEP_2) | instskip(SKIP_1) | instid1(VALU_DEP_3)
	v_fmamk_f32 v8, v8, 0x3d64c772, v6
	v_fma_f32 v6, 0xbf3bfb3b, v14, -v6
	v_fmac_f32_e32 v15, 0x3ee1c552, v5
	s_delay_alu instid0(VALU_DEP_4)
	v_fmamk_f32 v14, v2, 0x3eae86e6, v17
	v_fma_f32 v17, 0x3f5ff5aa, v20, -v17
	v_fma_f32 v20, 0xbeae86e6, v3, -v21
	v_fmamk_f32 v3, v11, 0xbf955555, v1
	v_fma_f32 v19, 0xbeae86e6, v2, -v19
	v_fmac_f32_e32 v14, 0x3ee1c552, v12
	s_delay_alu instid0(VALU_DEP_3)
	v_dual_fmac_f32 v20, 0x3ee1c552, v5 :: v_dual_add_f32 v11, v9, v3
	v_add_f32_e32 v0, v66, v10
	global_store_b64 v[25:26], v[0:1], off
	v_sub_f32_e32 v1, v11, v14
	v_fmac_f32_e32 v17, 0x3ee1c552, v12
	v_fmac_f32_e32 v19, 0x3ee1c552, v12
	v_fma_f32 v18, 0x3f5ff5aa, v4, -v18
	v_add_f32_e32 v12, v7, v3
	v_add_f32_e32 v7, v16, v3
	s_delay_alu instid0(VALU_DEP_3) | instskip(NEXT) | instid1(VALU_DEP_3)
	v_dual_add_f32 v11, v14, v11 :: v_dual_fmac_f32 v18, 0x3ee1c552, v5
	v_sub_f32_e32 v3, v12, v19
	s_delay_alu instid0(VALU_DEP_3) | instskip(NEXT) | instid1(VALU_DEP_1)
	v_dual_add_f32 v5, v17, v7 :: v_dual_fmamk_f32 v2, v10, 0xbf955555, v0
	v_dual_sub_f32 v7, v7, v17 :: v_dual_add_f32 v10, v8, v2
	v_add_f32_e32 v9, v6, v2
	v_add_f32_e32 v8, v13, v2
	s_delay_alu instid0(VALU_DEP_3) | instskip(NEXT) | instid1(VALU_DEP_3)
	v_add_f32_e32 v0, v15, v10
	v_add_f32_e32 v2, v20, v9
	s_delay_alu instid0(VALU_DEP_3)
	v_sub_f32_e32 v4, v8, v18
	v_add_f32_e32 v6, v18, v8
	v_sub_f32_e32 v8, v9, v20
	v_dual_add_f32 v9, v19, v12 :: v_dual_sub_f32 v10, v10, v15
	s_clause 0x5
	global_store_b64 v[27:28], v[0:1], off
	global_store_b64 v[29:30], v[2:3], off
	;; [unrolled: 1-line block ×6, first 2 shown]
.LBB0_20:
	s_nop 0
	s_sendmsg sendmsg(MSG_DEALLOC_VGPRS)
	s_endpgm
	.section	.rodata,"a",@progbits
	.p2align	6, 0x0
	.amdhsa_kernel fft_rtc_fwd_len1512_factors_2_2_2_3_3_3_7_wgs_63_tpt_63_halfLds_sp_op_CI_CI_sbrr_dirReg
		.amdhsa_group_segment_fixed_size 0
		.amdhsa_private_segment_fixed_size 0
		.amdhsa_kernarg_size 104
		.amdhsa_user_sgpr_count 2
		.amdhsa_user_sgpr_dispatch_ptr 0
		.amdhsa_user_sgpr_queue_ptr 0
		.amdhsa_user_sgpr_kernarg_segment_ptr 1
		.amdhsa_user_sgpr_dispatch_id 0
		.amdhsa_user_sgpr_private_segment_size 0
		.amdhsa_wavefront_size32 1
		.amdhsa_uses_dynamic_stack 0
		.amdhsa_enable_private_segment 0
		.amdhsa_system_sgpr_workgroup_id_x 1
		.amdhsa_system_sgpr_workgroup_id_y 0
		.amdhsa_system_sgpr_workgroup_id_z 0
		.amdhsa_system_sgpr_workgroup_info 0
		.amdhsa_system_vgpr_workitem_id 0
		.amdhsa_next_free_vgpr 130
		.amdhsa_next_free_sgpr 43
		.amdhsa_reserve_vcc 1
		.amdhsa_float_round_mode_32 0
		.amdhsa_float_round_mode_16_64 0
		.amdhsa_float_denorm_mode_32 3
		.amdhsa_float_denorm_mode_16_64 3
		.amdhsa_fp16_overflow 0
		.amdhsa_workgroup_processor_mode 1
		.amdhsa_memory_ordered 1
		.amdhsa_forward_progress 0
		.amdhsa_round_robin_scheduling 0
		.amdhsa_exception_fp_ieee_invalid_op 0
		.amdhsa_exception_fp_denorm_src 0
		.amdhsa_exception_fp_ieee_div_zero 0
		.amdhsa_exception_fp_ieee_overflow 0
		.amdhsa_exception_fp_ieee_underflow 0
		.amdhsa_exception_fp_ieee_inexact 0
		.amdhsa_exception_int_div_zero 0
	.end_amdhsa_kernel
	.text
.Lfunc_end0:
	.size	fft_rtc_fwd_len1512_factors_2_2_2_3_3_3_7_wgs_63_tpt_63_halfLds_sp_op_CI_CI_sbrr_dirReg, .Lfunc_end0-fft_rtc_fwd_len1512_factors_2_2_2_3_3_3_7_wgs_63_tpt_63_halfLds_sp_op_CI_CI_sbrr_dirReg
                                        ; -- End function
	.section	.AMDGPU.csdata,"",@progbits
; Kernel info:
; codeLenInByte = 19320
; NumSgprs: 45
; NumVgprs: 130
; ScratchSize: 0
; MemoryBound: 0
; FloatMode: 240
; IeeeMode: 1
; LDSByteSize: 0 bytes/workgroup (compile time only)
; SGPRBlocks: 5
; VGPRBlocks: 16
; NumSGPRsForWavesPerEU: 45
; NumVGPRsForWavesPerEU: 130
; Occupancy: 10
; WaveLimiterHint : 1
; COMPUTE_PGM_RSRC2:SCRATCH_EN: 0
; COMPUTE_PGM_RSRC2:USER_SGPR: 2
; COMPUTE_PGM_RSRC2:TRAP_HANDLER: 0
; COMPUTE_PGM_RSRC2:TGID_X_EN: 1
; COMPUTE_PGM_RSRC2:TGID_Y_EN: 0
; COMPUTE_PGM_RSRC2:TGID_Z_EN: 0
; COMPUTE_PGM_RSRC2:TIDIG_COMP_CNT: 0
	.text
	.p2alignl 7, 3214868480
	.fill 96, 4, 3214868480
	.type	__hip_cuid_aaba560eb3958c0c,@object ; @__hip_cuid_aaba560eb3958c0c
	.section	.bss,"aw",@nobits
	.globl	__hip_cuid_aaba560eb3958c0c
__hip_cuid_aaba560eb3958c0c:
	.byte	0                               ; 0x0
	.size	__hip_cuid_aaba560eb3958c0c, 1

	.ident	"AMD clang version 19.0.0git (https://github.com/RadeonOpenCompute/llvm-project roc-6.4.0 25133 c7fe45cf4b819c5991fe208aaa96edf142730f1d)"
	.section	".note.GNU-stack","",@progbits
	.addrsig
	.addrsig_sym __hip_cuid_aaba560eb3958c0c
	.amdgpu_metadata
---
amdhsa.kernels:
  - .args:
      - .actual_access:  read_only
        .address_space:  global
        .offset:         0
        .size:           8
        .value_kind:     global_buffer
      - .offset:         8
        .size:           8
        .value_kind:     by_value
      - .actual_access:  read_only
        .address_space:  global
        .offset:         16
        .size:           8
        .value_kind:     global_buffer
      - .actual_access:  read_only
        .address_space:  global
        .offset:         24
        .size:           8
        .value_kind:     global_buffer
      - .actual_access:  read_only
        .address_space:  global
        .offset:         32
        .size:           8
        .value_kind:     global_buffer
      - .offset:         40
        .size:           8
        .value_kind:     by_value
      - .actual_access:  read_only
        .address_space:  global
        .offset:         48
        .size:           8
        .value_kind:     global_buffer
      - .actual_access:  read_only
        .address_space:  global
        .offset:         56
        .size:           8
        .value_kind:     global_buffer
      - .offset:         64
        .size:           4
        .value_kind:     by_value
      - .actual_access:  read_only
        .address_space:  global
        .offset:         72
        .size:           8
        .value_kind:     global_buffer
      - .actual_access:  read_only
        .address_space:  global
        .offset:         80
        .size:           8
        .value_kind:     global_buffer
      - .actual_access:  read_only
        .address_space:  global
        .offset:         88
        .size:           8
        .value_kind:     global_buffer
      - .actual_access:  write_only
        .address_space:  global
        .offset:         96
        .size:           8
        .value_kind:     global_buffer
    .group_segment_fixed_size: 0
    .kernarg_segment_align: 8
    .kernarg_segment_size: 104
    .language:       OpenCL C
    .language_version:
      - 2
      - 0
    .max_flat_workgroup_size: 63
    .name:           fft_rtc_fwd_len1512_factors_2_2_2_3_3_3_7_wgs_63_tpt_63_halfLds_sp_op_CI_CI_sbrr_dirReg
    .private_segment_fixed_size: 0
    .sgpr_count:     45
    .sgpr_spill_count: 0
    .symbol:         fft_rtc_fwd_len1512_factors_2_2_2_3_3_3_7_wgs_63_tpt_63_halfLds_sp_op_CI_CI_sbrr_dirReg.kd
    .uniform_work_group_size: 1
    .uses_dynamic_stack: false
    .vgpr_count:     130
    .vgpr_spill_count: 0
    .wavefront_size: 32
    .workgroup_processor_mode: 1
amdhsa.target:   amdgcn-amd-amdhsa--gfx1201
amdhsa.version:
  - 1
  - 2
...

	.end_amdgpu_metadata
